;; amdgpu-corpus repo=ROCm/rocFFT kind=compiled arch=gfx1201 opt=O3
	.text
	.amdgcn_target "amdgcn-amd-amdhsa--gfx1201"
	.amdhsa_code_object_version 6
	.protected	fft_rtc_back_len1456_factors_13_4_7_2_2_wgs_182_tpt_182_halfLds_sp_ip_CI_unitstride_sbrr_R2C_dirReg ; -- Begin function fft_rtc_back_len1456_factors_13_4_7_2_2_wgs_182_tpt_182_halfLds_sp_ip_CI_unitstride_sbrr_R2C_dirReg
	.globl	fft_rtc_back_len1456_factors_13_4_7_2_2_wgs_182_tpt_182_halfLds_sp_ip_CI_unitstride_sbrr_R2C_dirReg
	.p2align	8
	.type	fft_rtc_back_len1456_factors_13_4_7_2_2_wgs_182_tpt_182_halfLds_sp_ip_CI_unitstride_sbrr_R2C_dirReg,@function
fft_rtc_back_len1456_factors_13_4_7_2_2_wgs_182_tpt_182_halfLds_sp_ip_CI_unitstride_sbrr_R2C_dirReg: ; @fft_rtc_back_len1456_factors_13_4_7_2_2_wgs_182_tpt_182_halfLds_sp_ip_CI_unitstride_sbrr_R2C_dirReg
; %bb.0:
	s_clause 0x2
	s_load_b128 s[4:7], s[0:1], 0x0
	s_load_b64 s[8:9], s[0:1], 0x50
	s_load_b64 s[10:11], s[0:1], 0x18
	v_mul_u32_u24_e32 v1, 0x169, v0
	v_mov_b32_e32 v3, 0
	s_delay_alu instid0(VALU_DEP_2) | instskip(NEXT) | instid1(VALU_DEP_1)
	v_lshrrev_b32_e32 v1, 16, v1
	v_add_nc_u32_e32 v5, ttmp9, v1
	v_mov_b32_e32 v1, 0
	v_mov_b32_e32 v2, 0
	;; [unrolled: 1-line block ×3, first 2 shown]
	s_wait_kmcnt 0x0
	v_cmp_lt_u64_e64 s2, s[6:7], 2
	s_delay_alu instid0(VALU_DEP_1)
	s_and_b32 vcc_lo, exec_lo, s2
	s_cbranch_vccnz .LBB0_8
; %bb.1:
	s_load_b64 s[2:3], s[0:1], 0x10
	v_mov_b32_e32 v1, 0
	v_mov_b32_e32 v2, 0
	s_add_nc_u64 s[12:13], s[10:11], 8
	s_mov_b64 s[14:15], 1
	s_wait_kmcnt 0x0
	s_add_nc_u64 s[16:17], s[2:3], 8
	s_mov_b32 s3, 0
.LBB0_2:                                ; =>This Inner Loop Header: Depth=1
	s_load_b64 s[18:19], s[16:17], 0x0
                                        ; implicit-def: $vgpr7_vgpr8
	s_mov_b32 s2, exec_lo
	s_wait_kmcnt 0x0
	v_or_b32_e32 v4, s19, v6
	s_delay_alu instid0(VALU_DEP_1)
	v_cmpx_ne_u64_e32 0, v[3:4]
	s_wait_alu 0xfffe
	s_xor_b32 s20, exec_lo, s2
	s_cbranch_execz .LBB0_4
; %bb.3:                                ;   in Loop: Header=BB0_2 Depth=1
	s_cvt_f32_u32 s2, s18
	s_cvt_f32_u32 s21, s19
	s_sub_nc_u64 s[24:25], 0, s[18:19]
	s_wait_alu 0xfffe
	s_delay_alu instid0(SALU_CYCLE_1) | instskip(SKIP_1) | instid1(SALU_CYCLE_2)
	s_fmamk_f32 s2, s21, 0x4f800000, s2
	s_wait_alu 0xfffe
	v_s_rcp_f32 s2, s2
	s_delay_alu instid0(TRANS32_DEP_1) | instskip(SKIP_1) | instid1(SALU_CYCLE_2)
	s_mul_f32 s2, s2, 0x5f7ffffc
	s_wait_alu 0xfffe
	s_mul_f32 s21, s2, 0x2f800000
	s_wait_alu 0xfffe
	s_delay_alu instid0(SALU_CYCLE_2) | instskip(SKIP_1) | instid1(SALU_CYCLE_2)
	s_trunc_f32 s21, s21
	s_wait_alu 0xfffe
	s_fmamk_f32 s2, s21, 0xcf800000, s2
	s_cvt_u32_f32 s23, s21
	s_wait_alu 0xfffe
	s_delay_alu instid0(SALU_CYCLE_1) | instskip(SKIP_1) | instid1(SALU_CYCLE_2)
	s_cvt_u32_f32 s22, s2
	s_wait_alu 0xfffe
	s_mul_u64 s[26:27], s[24:25], s[22:23]
	s_wait_alu 0xfffe
	s_mul_hi_u32 s29, s22, s27
	s_mul_i32 s28, s22, s27
	s_mul_hi_u32 s2, s22, s26
	s_mul_i32 s30, s23, s26
	s_wait_alu 0xfffe
	s_add_nc_u64 s[28:29], s[2:3], s[28:29]
	s_mul_hi_u32 s21, s23, s26
	s_mul_hi_u32 s31, s23, s27
	s_add_co_u32 s2, s28, s30
	s_wait_alu 0xfffe
	s_add_co_ci_u32 s2, s29, s21
	s_mul_i32 s26, s23, s27
	s_add_co_ci_u32 s27, s31, 0
	s_wait_alu 0xfffe
	s_add_nc_u64 s[26:27], s[2:3], s[26:27]
	s_wait_alu 0xfffe
	v_add_co_u32 v4, s2, s22, s26
	s_delay_alu instid0(VALU_DEP_1) | instskip(SKIP_1) | instid1(VALU_DEP_1)
	s_cmp_lg_u32 s2, 0
	s_add_co_ci_u32 s23, s23, s27
	v_readfirstlane_b32 s22, v4
	s_wait_alu 0xfffe
	s_delay_alu instid0(VALU_DEP_1)
	s_mul_u64 s[24:25], s[24:25], s[22:23]
	s_wait_alu 0xfffe
	s_mul_hi_u32 s27, s22, s25
	s_mul_i32 s26, s22, s25
	s_mul_hi_u32 s2, s22, s24
	s_mul_i32 s28, s23, s24
	s_wait_alu 0xfffe
	s_add_nc_u64 s[26:27], s[2:3], s[26:27]
	s_mul_hi_u32 s21, s23, s24
	s_mul_hi_u32 s22, s23, s25
	s_wait_alu 0xfffe
	s_add_co_u32 s2, s26, s28
	s_add_co_ci_u32 s2, s27, s21
	s_mul_i32 s24, s23, s25
	s_add_co_ci_u32 s25, s22, 0
	s_wait_alu 0xfffe
	s_add_nc_u64 s[24:25], s[2:3], s[24:25]
	s_wait_alu 0xfffe
	v_add_co_u32 v4, s2, v4, s24
	s_delay_alu instid0(VALU_DEP_1) | instskip(SKIP_1) | instid1(VALU_DEP_1)
	s_cmp_lg_u32 s2, 0
	s_add_co_ci_u32 s2, s23, s25
	v_mul_hi_u32 v13, v5, v4
	s_wait_alu 0xfffe
	v_mad_co_u64_u32 v[7:8], null, v5, s2, 0
	v_mad_co_u64_u32 v[9:10], null, v6, v4, 0
	;; [unrolled: 1-line block ×3, first 2 shown]
	s_delay_alu instid0(VALU_DEP_3) | instskip(SKIP_1) | instid1(VALU_DEP_4)
	v_add_co_u32 v4, vcc_lo, v13, v7
	s_wait_alu 0xfffd
	v_add_co_ci_u32_e32 v7, vcc_lo, 0, v8, vcc_lo
	s_delay_alu instid0(VALU_DEP_2) | instskip(SKIP_1) | instid1(VALU_DEP_2)
	v_add_co_u32 v4, vcc_lo, v4, v9
	s_wait_alu 0xfffd
	v_add_co_ci_u32_e32 v4, vcc_lo, v7, v10, vcc_lo
	s_wait_alu 0xfffd
	v_add_co_ci_u32_e32 v7, vcc_lo, 0, v12, vcc_lo
	s_delay_alu instid0(VALU_DEP_2) | instskip(SKIP_1) | instid1(VALU_DEP_2)
	v_add_co_u32 v4, vcc_lo, v4, v11
	s_wait_alu 0xfffd
	v_add_co_ci_u32_e32 v9, vcc_lo, 0, v7, vcc_lo
	s_delay_alu instid0(VALU_DEP_2) | instskip(SKIP_1) | instid1(VALU_DEP_3)
	v_mul_lo_u32 v10, s19, v4
	v_mad_co_u64_u32 v[7:8], null, s18, v4, 0
	v_mul_lo_u32 v11, s18, v9
	s_delay_alu instid0(VALU_DEP_2) | instskip(NEXT) | instid1(VALU_DEP_2)
	v_sub_co_u32 v7, vcc_lo, v5, v7
	v_add3_u32 v8, v8, v11, v10
	s_delay_alu instid0(VALU_DEP_1) | instskip(SKIP_1) | instid1(VALU_DEP_1)
	v_sub_nc_u32_e32 v10, v6, v8
	s_wait_alu 0xfffd
	v_subrev_co_ci_u32_e64 v10, s2, s19, v10, vcc_lo
	v_add_co_u32 v11, s2, v4, 2
	s_wait_alu 0xf1ff
	v_add_co_ci_u32_e64 v12, s2, 0, v9, s2
	v_sub_co_u32 v13, s2, v7, s18
	v_sub_co_ci_u32_e32 v8, vcc_lo, v6, v8, vcc_lo
	s_wait_alu 0xf1ff
	v_subrev_co_ci_u32_e64 v10, s2, 0, v10, s2
	s_delay_alu instid0(VALU_DEP_3) | instskip(NEXT) | instid1(VALU_DEP_3)
	v_cmp_le_u32_e32 vcc_lo, s18, v13
	v_cmp_eq_u32_e64 s2, s19, v8
	s_wait_alu 0xfffd
	v_cndmask_b32_e64 v13, 0, -1, vcc_lo
	v_cmp_le_u32_e32 vcc_lo, s19, v10
	s_wait_alu 0xfffd
	v_cndmask_b32_e64 v14, 0, -1, vcc_lo
	v_cmp_le_u32_e32 vcc_lo, s18, v7
	;; [unrolled: 3-line block ×3, first 2 shown]
	s_wait_alu 0xfffd
	v_cndmask_b32_e64 v15, 0, -1, vcc_lo
	v_cmp_eq_u32_e32 vcc_lo, s19, v10
	s_wait_alu 0xf1ff
	s_delay_alu instid0(VALU_DEP_2)
	v_cndmask_b32_e64 v7, v15, v7, s2
	s_wait_alu 0xfffd
	v_cndmask_b32_e32 v10, v14, v13, vcc_lo
	v_add_co_u32 v13, vcc_lo, v4, 1
	s_wait_alu 0xfffd
	v_add_co_ci_u32_e32 v14, vcc_lo, 0, v9, vcc_lo
	s_delay_alu instid0(VALU_DEP_3) | instskip(SKIP_2) | instid1(VALU_DEP_3)
	v_cmp_ne_u32_e32 vcc_lo, 0, v10
	s_wait_alu 0xfffd
	v_cndmask_b32_e32 v10, v13, v11, vcc_lo
	v_cndmask_b32_e32 v8, v14, v12, vcc_lo
	v_cmp_ne_u32_e32 vcc_lo, 0, v7
	s_wait_alu 0xfffd
	s_delay_alu instid0(VALU_DEP_2)
	v_dual_cndmask_b32 v7, v4, v10 :: v_dual_cndmask_b32 v8, v9, v8
.LBB0_4:                                ;   in Loop: Header=BB0_2 Depth=1
	s_wait_alu 0xfffe
	s_and_not1_saveexec_b32 s2, s20
	s_cbranch_execz .LBB0_6
; %bb.5:                                ;   in Loop: Header=BB0_2 Depth=1
	v_cvt_f32_u32_e32 v4, s18
	s_sub_co_i32 s20, 0, s18
	s_delay_alu instid0(VALU_DEP_1) | instskip(NEXT) | instid1(TRANS32_DEP_1)
	v_rcp_iflag_f32_e32 v4, v4
	v_mul_f32_e32 v4, 0x4f7ffffe, v4
	s_delay_alu instid0(VALU_DEP_1) | instskip(SKIP_1) | instid1(VALU_DEP_1)
	v_cvt_u32_f32_e32 v4, v4
	s_wait_alu 0xfffe
	v_mul_lo_u32 v7, s20, v4
	s_delay_alu instid0(VALU_DEP_1) | instskip(NEXT) | instid1(VALU_DEP_1)
	v_mul_hi_u32 v7, v4, v7
	v_add_nc_u32_e32 v4, v4, v7
	s_delay_alu instid0(VALU_DEP_1) | instskip(NEXT) | instid1(VALU_DEP_1)
	v_mul_hi_u32 v4, v5, v4
	v_mul_lo_u32 v7, v4, s18
	v_add_nc_u32_e32 v8, 1, v4
	s_delay_alu instid0(VALU_DEP_2) | instskip(NEXT) | instid1(VALU_DEP_1)
	v_sub_nc_u32_e32 v7, v5, v7
	v_subrev_nc_u32_e32 v9, s18, v7
	v_cmp_le_u32_e32 vcc_lo, s18, v7
	s_wait_alu 0xfffd
	s_delay_alu instid0(VALU_DEP_2) | instskip(NEXT) | instid1(VALU_DEP_1)
	v_dual_cndmask_b32 v7, v7, v9 :: v_dual_cndmask_b32 v4, v4, v8
	v_cmp_le_u32_e32 vcc_lo, s18, v7
	s_delay_alu instid0(VALU_DEP_2) | instskip(SKIP_1) | instid1(VALU_DEP_1)
	v_add_nc_u32_e32 v8, 1, v4
	s_wait_alu 0xfffd
	v_dual_cndmask_b32 v7, v4, v8 :: v_dual_mov_b32 v8, v3
.LBB0_6:                                ;   in Loop: Header=BB0_2 Depth=1
	s_wait_alu 0xfffe
	s_or_b32 exec_lo, exec_lo, s2
	s_load_b64 s[20:21], s[12:13], 0x0
	s_delay_alu instid0(VALU_DEP_1)
	v_mul_lo_u32 v4, v8, s18
	v_mul_lo_u32 v11, v7, s19
	v_mad_co_u64_u32 v[9:10], null, v7, s18, 0
	s_add_nc_u64 s[14:15], s[14:15], 1
	s_add_nc_u64 s[12:13], s[12:13], 8
	s_wait_alu 0xfffe
	v_cmp_ge_u64_e64 s2, s[14:15], s[6:7]
	s_add_nc_u64 s[16:17], s[16:17], 8
	s_delay_alu instid0(VALU_DEP_2) | instskip(NEXT) | instid1(VALU_DEP_3)
	v_add3_u32 v4, v10, v11, v4
	v_sub_co_u32 v5, vcc_lo, v5, v9
	s_wait_alu 0xfffd
	s_delay_alu instid0(VALU_DEP_2) | instskip(SKIP_3) | instid1(VALU_DEP_2)
	v_sub_co_ci_u32_e32 v4, vcc_lo, v6, v4, vcc_lo
	s_and_b32 vcc_lo, exec_lo, s2
	s_wait_kmcnt 0x0
	v_mul_lo_u32 v6, s21, v5
	v_mul_lo_u32 v4, s20, v4
	v_mad_co_u64_u32 v[1:2], null, s20, v5, v[1:2]
	s_delay_alu instid0(VALU_DEP_1)
	v_add3_u32 v2, v6, v2, v4
	s_wait_alu 0xfffe
	s_cbranch_vccnz .LBB0_9
; %bb.7:                                ;   in Loop: Header=BB0_2 Depth=1
	v_dual_mov_b32 v5, v7 :: v_dual_mov_b32 v6, v8
	s_branch .LBB0_2
.LBB0_8:
	v_dual_mov_b32 v8, v6 :: v_dual_mov_b32 v7, v5
.LBB0_9:
	s_lshl_b64 s[2:3], s[6:7], 3
	v_mul_hi_u32 v3, 0x1681682, v0
	s_wait_alu 0xfffe
	s_add_nc_u64 s[2:3], s[10:11], s[2:3]
	s_load_b64 s[2:3], s[2:3], 0x0
	s_load_b64 s[0:1], s[0:1], 0x20
	s_delay_alu instid0(VALU_DEP_1) | instskip(NEXT) | instid1(VALU_DEP_1)
	v_mul_u32_u24_e32 v3, 0xb6, v3
	v_sub_nc_u32_e32 v32, v0, v3
	s_delay_alu instid0(VALU_DEP_1)
	v_lshl_add_u32 v40, v32, 3, 0
	s_wait_kmcnt 0x0
	v_mul_lo_u32 v4, s2, v8
	v_mul_lo_u32 v5, s3, v7
	v_mad_co_u64_u32 v[1:2], null, s2, v7, v[1:2]
	v_cmp_gt_u64_e32 vcc_lo, s[0:1], v[7:8]
	s_delay_alu instid0(VALU_DEP_2) | instskip(NEXT) | instid1(VALU_DEP_1)
	v_add3_u32 v2, v5, v2, v4
	v_lshlrev_b64_e32 v[34:35], 3, v[1:2]
	s_and_saveexec_b32 s1, vcc_lo
	s_cbranch_execz .LBB0_11
; %bb.10:
	v_dual_mov_b32 v33, 0 :: v_dual_add_nc_u32 v16, 0xa00, v40
	s_delay_alu instid0(VALU_DEP_2) | instskip(SKIP_2) | instid1(VALU_DEP_3)
	v_add_co_u32 v2, s0, s8, v34
	s_wait_alu 0xf1ff
	v_add_co_ci_u32_e64 v3, s0, s9, v35, s0
	v_lshlrev_b64_e32 v[0:1], 3, v[32:33]
	v_add_nc_u32_e32 v17, 0x1600, v40
	v_add_nc_u32_e32 v18, 0x2000, v40
	s_delay_alu instid0(VALU_DEP_3) | instskip(SKIP_1) | instid1(VALU_DEP_4)
	v_add_co_u32 v0, s0, v2, v0
	s_wait_alu 0xf1ff
	v_add_co_ci_u32_e64 v1, s0, v3, v1, s0
	s_clause 0x7
	global_load_b64 v[2:3], v[0:1], off
	global_load_b64 v[4:5], v[0:1], off offset:1456
	global_load_b64 v[6:7], v[0:1], off offset:2912
	global_load_b64 v[8:9], v[0:1], off offset:4368
	global_load_b64 v[10:11], v[0:1], off offset:5824
	global_load_b64 v[12:13], v[0:1], off offset:7280
	global_load_b64 v[14:15], v[0:1], off offset:8736
	global_load_b64 v[0:1], v[0:1], off offset:10192
	s_wait_loadcnt 0x6
	ds_store_2addr_b64 v40, v[2:3], v[4:5] offset1:182
	s_wait_loadcnt 0x4
	ds_store_2addr_b64 v16, v[6:7], v[8:9] offset0:44 offset1:226
	s_wait_loadcnt 0x2
	ds_store_2addr_b64 v17, v[10:11], v[12:13] offset0:24 offset1:206
	;; [unrolled: 2-line block ×3, first 2 shown]
.LBB0_11:
	s_wait_alu 0xfffe
	s_or_b32 exec_lo, exec_lo, s1
	global_wb scope:SCOPE_SE
	s_wait_dscnt 0x0
	s_barrier_signal -1
	s_barrier_wait -1
	global_inv scope:SCOPE_SE
	ds_load_2addr_b64 v[12:15], v40 offset1:112
	ds_load_b64 v[2:3], v40 offset:10752
	v_add_nc_u32_e32 v0, 0x400, v40
	v_add_nc_u32_e32 v41, 0x2000, v40
	;; [unrolled: 1-line block ×3, first 2 shown]
	s_mov_b32 s1, exec_lo
	s_wait_dscnt 0x0
	v_dual_sub_f32 v68, v14, v2 :: v_dual_sub_f32 v77, v15, v3
	v_add_f32_e32 v70, v3, v15
	ds_load_2addr_b64 v[28:31], v0 offset0:96 offset1:208
	ds_load_2addr_b64 v[8:11], v41 offset0:96 offset1:208
	v_add_nc_u32_e32 v1, 0x1800, v40
	v_dual_add_f32 v67, v2, v14 :: v_dual_add_nc_u32 v0, 0x1400, v40
	ds_load_2addr_b64 v[24:27], v33 offset0:64 offset1:176
	ds_load_2addr_b64 v[20:23], v0 offset0:32 offset1:144
	v_mul_f32_e32 v42, 0xbeedf032, v77
	v_mul_f32_e32 v47, 0xbf52af12, v77
	;; [unrolled: 1-line block ×6, first 2 shown]
	v_fma_f32 v4, 0x3f116cb1, v67, -v47
	s_delay_alu instid0(VALU_DEP_1)
	v_add_f32_e32 v4, v12, v4
	s_wait_dscnt 0x2
	v_add_f32_e32 v74, v11, v29
	ds_load_2addr_b64 v[16:19], v1 offset0:128 offset1:240
	v_sub_f32_e32 v85, v29, v11
	v_add_f32_e32 v69, v10, v28
	v_fma_f32 v0, 0x3f62ad3f, v67, -v42
	v_mul_f32_e32 v43, 0x3f62ad3f, v70
	s_delay_alu instid0(VALU_DEP_4) | instskip(NEXT) | instid1(VALU_DEP_3)
	v_dual_sub_f32 v71, v28, v10 :: v_dual_mul_f32 v44, 0xbf52af12, v85
	v_dual_mul_f32 v53, 0xbf6f5d39, v85 :: v_dual_add_f32 v0, v12, v0
	s_delay_alu instid0(VALU_DEP_3) | instskip(NEXT) | instid1(VALU_DEP_3)
	v_dual_fmamk_f32 v1, v68, 0xbeedf032, v43 :: v_dual_add_f32 v86, v9, v31
	v_fma_f32 v7, 0x3f116cb1, v69, -v44
	v_dual_sub_f32 v95, v31, v9 :: v_dual_add_f32 v72, v8, v30
	s_delay_alu instid0(VALU_DEP_4) | instskip(SKIP_1) | instid1(VALU_DEP_4)
	v_fma_f32 v36, 0xbeb58ec6, v69, -v53
	v_mul_f32_e32 v45, 0x3f116cb1, v74
	v_dual_mul_f32 v49, 0x3f116cb1, v70 :: v_dual_add_f32 v0, v7, v0
	v_fma_f32 v6, 0x3df6dbef, v67, -v52
	v_dual_add_f32 v1, v13, v1 :: v_dual_mul_f32 v46, 0xbf7e222b, v95
	v_sub_f32_e32 v73, v30, v8
	v_dual_add_f32 v4, v36, v4 :: v_dual_fmamk_f32 v7, v71, 0xbf52af12, v45
	s_wait_dscnt 0x0
	v_sub_f32_e32 v98, v25, v19
	v_add_f32_e32 v6, v12, v6
	v_fma_f32 v38, 0x3df6dbef, v72, -v46
	v_fmamk_f32 v5, v68, 0xbf52af12, v49
	v_dual_add_f32 v1, v7, v1 :: v_dual_mul_f32 v58, 0xbe750f2a, v95
	v_mul_f32_e32 v48, 0x3df6dbef, v86
	s_delay_alu instid0(VALU_DEP_3) | instskip(SKIP_3) | instid1(VALU_DEP_3)
	v_dual_add_f32 v0, v38, v0 :: v_dual_add_f32 v5, v13, v5
	v_dual_add_f32 v93, v19, v25 :: v_dual_mul_f32 v56, 0x3f29c268, v98
	v_dual_add_f32 v75, v18, v24 :: v_dual_mul_f32 v50, 0xbf6f5d39, v98
	v_fma_f32 v36, 0xbf788fa5, v72, -v58
	v_mul_f32_e32 v64, 0xbf3f9e67, v93
	v_mul_f32_e32 v57, 0xbeb58ec6, v74
	v_dual_fmamk_f32 v7, v73, 0xbf7e222b, v48 :: v_dual_sub_f32 v106, v27, v17
	v_sub_f32_e32 v76, v24, v18
	v_fma_f32 v38, 0xbeb58ec6, v75, -v50
	s_delay_alu instid0(VALU_DEP_4) | instskip(SKIP_2) | instid1(VALU_DEP_3)
	v_dual_add_f32 v4, v36, v4 :: v_dual_fmamk_f32 v37, v71, 0xbf6f5d39, v57
	v_mul_f32_e32 v51, 0xbeb58ec6, v93
	v_dual_add_f32 v1, v7, v1 :: v_dual_mul_f32 v54, 0xbf29c268, v106
	v_dual_add_f32 v0, v38, v0 :: v_dual_add_f32 v5, v37, v5
	s_delay_alu instid0(VALU_DEP_3) | instskip(SKIP_2) | instid1(VALU_DEP_3)
	v_fmamk_f32 v7, v76, 0xbf6f5d39, v51
	v_dual_mul_f32 v63, 0xbf788fa5, v86 :: v_dual_sub_f32 v80, v26, v16
	v_dual_add_f32 v97, v17, v27 :: v_dual_sub_f32 v88, v20, v22
	v_dual_add_f32 v1, v7, v1 :: v_dual_sub_f32 v112, v21, v23
	v_fma_f32 v7, 0xbf3f9e67, v75, -v56
	s_delay_alu instid0(VALU_DEP_3) | instskip(SKIP_2) | instid1(VALU_DEP_4)
	v_dual_add_f32 v79, v16, v26 :: v_dual_mul_f32 v66, 0x3df6dbef, v97
	v_mul_f32_e32 v59, 0x3f7e222b, v106
	v_add_f32_e32 v101, v23, v21
	v_add_f32_e32 v4, v7, v4
	v_dual_add_f32 v87, v22, v20 :: v_dual_mul_f32 v78, 0xbe750f2a, v85
	s_delay_alu instid0(VALU_DEP_4) | instskip(SKIP_3) | instid1(VALU_DEP_3)
	v_fma_f32 v38, 0x3df6dbef, v79, -v59
	v_fmamk_f32 v37, v73, 0xbe750f2a, v63
	v_fmamk_f32 v36, v76, 0x3f29c268, v64
	v_dual_mul_f32 v61, 0xbf788fa5, v101 :: v_dual_mul_f32 v92, 0xbf788fa5, v74
	v_dual_add_f32 v4, v38, v4 :: v_dual_add_f32 v5, v37, v5
	v_fma_f32 v37, 0xbf3f9e67, v79, -v54
	v_fma_f32 v38, 0xbf788fa5, v69, -v78
	v_mul_f32_e32 v62, 0x3eedf032, v112
	s_delay_alu instid0(VALU_DEP_4)
	v_dual_mul_f32 v84, 0xbf52af12, v106 :: v_dual_add_f32 v5, v36, v5
	v_mul_f32_e32 v60, 0xbe750f2a, v112
	v_dual_add_f32 v0, v37, v0 :: v_dual_mul_f32 v55, 0xbf3f9e67, v97
	v_fmamk_f32 v36, v88, 0xbe750f2a, v61
	v_add_f32_e32 v6, v38, v6
	v_fma_f32 v94, 0x3f116cb1, v79, -v84
	v_mul_f32_e32 v91, 0x3df6dbef, v70
	v_fmamk_f32 v7, v80, 0xbf29c268, v55
	v_fmamk_f32 v38, v71, 0xbe750f2a, v92
	v_mul_f32_e32 v82, 0x3f6f5d39, v95
	v_mul_f32_e32 v89, 0xbeb58ec6, v86
	v_fma_f32 v37, 0x3f62ad3f, v87, -v62
	v_add_f32_e32 v1, v7, v1
	v_mul_f32_e32 v90, 0x3f62ad3f, v93
	v_mul_f32_e32 v100, 0x3eedf032, v95
	v_dual_mul_f32 v109, 0xbf3f9e67, v74 :: v_dual_mul_f32 v96, 0xbf3f9e67, v101
	s_delay_alu instid0(VALU_DEP_4) | instskip(SKIP_1) | instid1(VALU_DEP_4)
	v_add_f32_e32 v1, v36, v1
	v_fmamk_f32 v36, v68, 0xbf7e222b, v91
	v_fma_f32 v102, 0x3f62ad3f, v72, -v100
	v_mul_f32_e32 v117, 0x3eedf032, v106
	v_mul_f32_e32 v125, 0x3f116cb1, v86
	v_dual_mul_f32 v111, 0x3df6dbef, v93 :: v_dual_mul_f32 v124, 0x3df6dbef, v74
	v_dual_add_f32 v36, v13, v36 :: v_dual_fmamk_f32 v7, v80, 0x3f7e222b, v66
	s_delay_alu instid0(VALU_DEP_4) | instskip(SKIP_2) | instid1(VALU_DEP_4)
	v_fma_f32 v128, 0x3f62ad3f, v79, -v117
	v_fmamk_f32 v126, v88, 0xbf29c268, v96
	v_mul_f32_e32 v108, 0xbf788fa5, v97
	v_dual_add_f32 v36, v38, v36 :: v_dual_add_f32 v5, v7, v5
	v_fma_f32 v7, 0xbf788fa5, v87, -v60
	v_mul_f32_e32 v121, 0xbf788fa5, v93
	v_mul_f32_e32 v119, 0xbf52af12, v95
	global_wb scope:SCOPE_SE
	s_barrier_signal -1
	v_add_f32_e32 v0, v7, v0
	v_fma_f32 v7, 0xbeb58ec6, v72, -v82
	v_mul_f32_e32 v65, 0x3f62ad3f, v101
	v_fmamk_f32 v120, v76, 0x3e750f2a, v121
	v_mul_f32_e32 v118, 0x3f7e222b, v85
	s_barrier_wait -1
	s_delay_alu instid0(VALU_DEP_3)
	v_dual_add_f32 v6, v7, v6 :: v_dual_fmamk_f32 v39, v88, 0x3eedf032, v65
	v_fmamk_f32 v38, v73, 0x3f6f5d39, v89
	v_mul_f32_e32 v83, 0x3eedf032, v98
	global_inv scope:SCOPE_SE
	v_mul_f32_e32 v116, 0x3e750f2a, v98
	v_fmamk_f32 v114, v71, 0x3f7e222b, v124
	v_add_f32_e32 v36, v38, v36
	v_fma_f32 v7, 0x3f62ad3f, v75, -v83
	v_fmamk_f32 v38, v76, 0x3eedf032, v90
	v_mul_f32_e32 v99, 0xbf6f5d39, v77
	s_delay_alu instid0(VALU_DEP_2) | instskip(SKIP_1) | instid1(VALU_DEP_2)
	v_dual_add_f32 v7, v7, v6 :: v_dual_add_f32 v36, v38, v36
	v_dual_add_f32 v6, v37, v4 :: v_dual_mul_f32 v103, 0x3f29c268, v85
	v_dual_add_f32 v4, v94, v7 :: v_dual_add_f32 v7, v39, v5
	s_delay_alu instid0(VALU_DEP_4) | instskip(NEXT) | instid1(VALU_DEP_3)
	v_fma_f32 v5, 0xbeb58ec6, v67, -v99
	v_fma_f32 v38, 0xbf3f9e67, v69, -v103
	v_fmamk_f32 v39, v68, 0xbf6f5d39, v107
	v_mul_f32_e32 v81, 0xbf29c268, v112
	v_mul_f32_e32 v94, 0x3f116cb1, v97
	v_add_f32_e32 v5, v12, v5
	s_delay_alu instid0(VALU_DEP_1) | instskip(NEXT) | instid1(VALU_DEP_4)
	v_dual_add_f32 v5, v38, v5 :: v_dual_add_f32 v38, v13, v39
	v_fma_f32 v37, 0xbf3f9e67, v87, -v81
	v_fmamk_f32 v39, v71, 0x3f29c268, v109
	s_delay_alu instid0(VALU_DEP_3) | instskip(NEXT) | instid1(VALU_DEP_3)
	v_dual_add_f32 v5, v102, v5 :: v_dual_mul_f32 v104, 0xbf7e222b, v98
	v_dual_add_f32 v4, v37, v4 :: v_dual_fmamk_f32 v37, v80, 0xbf52af12, v94
	s_delay_alu instid0(VALU_DEP_1) | instskip(SKIP_1) | instid1(VALU_DEP_4)
	v_dual_add_f32 v36, v37, v36 :: v_dual_add_f32 v37, v39, v38
	v_mul_f32_e32 v110, 0x3f62ad3f, v86
	v_fma_f32 v39, 0x3df6dbef, v75, -v104
	s_delay_alu instid0(VALU_DEP_1) | instskip(NEXT) | instid1(VALU_DEP_1)
	v_dual_fmamk_f32 v38, v73, 0x3eedf032, v110 :: v_dual_add_f32 v5, v39, v5
	v_dual_add_f32 v37, v38, v37 :: v_dual_fmamk_f32 v38, v76, 0xbf7e222b, v111
	s_delay_alu instid0(VALU_DEP_1) | instskip(NEXT) | instid1(VALU_DEP_1)
	v_dual_mul_f32 v102, 0x3e750f2a, v106 :: v_dual_add_f32 v37, v38, v37
	v_fma_f32 v39, 0xbf788fa5, v79, -v102
	s_delay_alu instid0(VALU_DEP_1) | instskip(SKIP_2) | instid1(VALU_DEP_3)
	v_dual_add_f32 v38, v39, v5 :: v_dual_fmamk_f32 v5, v80, 0x3e750f2a, v108
	v_fma_f32 v39, 0xbf3f9e67, v67, -v115
	v_fmamk_f32 v105, v68, 0xbf29c268, v123
	v_add_f32_e32 v37, v5, v37
	s_delay_alu instid0(VALU_DEP_3) | instskip(SKIP_1) | instid1(VALU_DEP_4)
	v_add_f32_e32 v5, v12, v39
	v_fma_f32 v39, 0x3df6dbef, v69, -v118
	v_add_f32_e32 v113, v13, v105
	s_delay_alu instid0(VALU_DEP_2) | instskip(NEXT) | instid1(VALU_DEP_2)
	v_add_f32_e32 v5, v39, v5
	v_add_f32_e32 v39, v114, v113
	v_fma_f32 v113, 0x3f116cb1, v72, -v119
	v_fmamk_f32 v114, v73, 0xbf52af12, v125
	s_delay_alu instid0(VALU_DEP_2) | instskip(NEXT) | instid1(VALU_DEP_2)
	v_add_f32_e32 v5, v113, v5
	v_add_f32_e32 v39, v114, v39
	v_fma_f32 v114, 0xbf788fa5, v75, -v116
	v_mul_f32_e32 v113, 0x3f116cb1, v101
	v_mul_f32_e32 v105, 0x3f52af12, v112
	s_delay_alu instid0(VALU_DEP_2)
	v_dual_add_f32 v5, v114, v5 :: v_dual_fmamk_f32 v130, v88, 0x3f52af12, v113
	v_dual_add_f32 v39, v120, v39 :: v_dual_mul_f32 v122, 0x3f62ad3f, v97
	v_mul_f32_e32 v114, 0xbf6f5d39, v112
	v_mul_f32_e32 v120, 0xbeb58ec6, v101
	v_fma_f32 v127, 0x3f116cb1, v87, -v105
	v_dual_add_f32 v128, v128, v5 :: v_dual_add_f32 v5, v126, v36
	v_fmamk_f32 v129, v80, 0x3eedf032, v122
	s_delay_alu instid0(VALU_DEP_3) | instskip(SKIP_1) | instid1(VALU_DEP_3)
	v_dual_fmamk_f32 v131, v88, 0xbf6f5d39, v120 :: v_dual_add_f32 v36, v127, v38
	v_add_f32_e32 v37, v130, v37
	v_add_f32_e32 v39, v129, v39
	v_fma_f32 v129, 0xbeb58ec6, v87, -v114
	s_delay_alu instid0(VALU_DEP_1)
	v_dual_add_f32 v39, v131, v39 :: v_dual_add_f32 v38, v129, v128
	v_cmpx_gt_u32_e32 0x70, v32
	s_cbranch_execz .LBB0_13
; %bb.12:
	v_dual_mul_f32 v126, 0xbe750f2a, v68 :: v_dual_mul_f32 v77, 0xbe750f2a, v77
	v_mul_f32_e32 v95, 0xbf29c268, v95
	v_dual_mul_f32 v137, 0x3f52af12, v76 :: v_dual_mul_f32 v98, 0x3f52af12, v98
	s_delay_alu instid0(VALU_DEP_3)
	v_fmamk_f32 v127, v70, 0xbf788fa5, v126
	v_fma_f32 v70, 0xbf788fa5, v70, -v126
	v_mul_f32_e32 v129, 0xbeedf032, v68
	v_fma_f32 v133, 0xbf788fa5, v67, -v77
	v_mul_f32_e32 v128, 0x3f62ad3f, v67
	v_dual_mul_f32 v132, 0xbf52af12, v68 :: v_dual_add_f32 v127, v13, v127
	v_dual_add_f32 v70, v13, v70 :: v_dual_mul_f32 v85, 0x3eedf032, v85
	s_delay_alu instid0(VALU_DEP_4)
	v_add_f32_e32 v133, v12, v133
	v_mul_f32_e32 v135, 0xbf29c268, v73
	v_fmac_f32_e32 v77, 0xbf788fa5, v67
	v_add_f32_e32 v15, v13, v15
	v_fma_f32 v136, 0x3f62ad3f, v69, -v85
	v_dual_mul_f32 v130, 0x3f116cb1, v67 :: v_dual_sub_f32 v49, v49, v132
	v_mul_f32_e32 v106, 0xbf6f5d39, v106
	v_mul_f32_e32 v141, 0xbeb58ec6, v69
	s_delay_alu instid0(VALU_DEP_4) | instskip(SKIP_4) | instid1(VALU_DEP_4)
	v_add_f32_e32 v133, v136, v133
	v_fma_f32 v136, 0xbf3f9e67, v72, -v95
	v_add_f32_e32 v15, v15, v29
	v_dual_add_f32 v47, v130, v47 :: v_dual_mul_f32 v140, 0x3f7e222b, v88
	v_mul_f32_e32 v139, 0x3df6dbef, v67
	v_add_f32_e32 v133, v136, v133
	v_fma_f32 v136, 0x3f116cb1, v75, -v98
	v_add_f32_e32 v15, v15, v31
	v_add_f32_e32 v47, v12, v47
	v_dual_add_f32 v77, v12, v77 :: v_dual_mul_f32 v138, 0xbf6f5d39, v80
	s_delay_alu instid0(VALU_DEP_4) | instskip(SKIP_4) | instid1(VALU_DEP_4)
	v_add_f32_e32 v133, v136, v133
	v_fma_f32 v136, 0xbeb58ec6, v79, -v106
	v_mul_f32_e32 v112, 0x3f7e222b, v112
	v_dual_fmac_f32 v106, 0xbeb58ec6, v79 :: v_dual_add_f32 v15, v15, v25
	v_add_f32_e32 v25, v128, v42
	v_add_f32_e32 v133, v136, v133
	s_delay_alu instid0(VALU_DEP_4) | instskip(SKIP_3) | instid1(VALU_DEP_4)
	v_fma_f32 v126, 0x3df6dbef, v87, -v112
	v_mul_f32_e32 v131, 0x3eedf032, v71
	v_fmamk_f32 v136, v101, 0x3df6dbef, v140
	v_fma_f32 v101, 0x3df6dbef, v101, -v140
	v_dual_add_f32 v15, v15, v27 :: v_dual_add_f32 v126, v126, v133
	s_delay_alu instid0(VALU_DEP_4)
	v_fmamk_f32 v134, v74, 0x3f62ad3f, v131
	v_fma_f32 v74, 0x3f62ad3f, v74, -v131
	v_mul_f32_e32 v133, 0xbf6f5d39, v68
	v_mul_f32_e32 v131, 0xbeb58ec6, v67
	v_add_f32_e32 v15, v15, v21
	v_add_f32_e32 v127, v134, v127
	v_fmamk_f32 v134, v86, 0xbf3f9e67, v135
	v_dual_add_f32 v70, v74, v70 :: v_dual_fmac_f32 v85, 0x3f62ad3f, v69
	s_delay_alu instid0(VALU_DEP_4) | instskip(SKIP_1) | instid1(VALU_DEP_4)
	v_add_f32_e32 v15, v15, v23
	v_add_f32_e32 v53, v141, v53
	v_dual_add_f32 v127, v134, v127 :: v_dual_fmamk_f32 v134, v93, 0x3f116cb1, v137
	v_fmac_f32_e32 v112, 0x3df6dbef, v87
	v_add_f32_e32 v52, v139, v52
	v_add_f32_e32 v15, v15, v17
	;; [unrolled: 1-line block ×3, first 2 shown]
	v_dual_add_f32 v127, v134, v127 :: v_dual_fmamk_f32 v134, v97, 0xbeb58ec6, v138
	v_fma_f32 v97, 0xbeb58ec6, v97, -v138
	s_delay_alu instid0(VALU_DEP_4) | instskip(SKIP_1) | instid1(VALU_DEP_4)
	v_dual_mul_f32 v138, 0xbf52af12, v73 :: v_dual_add_f32 v15, v15, v19
	v_fmac_f32_e32 v98, 0x3f116cb1, v75
	v_dual_add_f32 v127, v134, v127 :: v_dual_mul_f32 v134, 0xbf7e222b, v68
	v_mul_f32_e32 v68, 0xbf29c268, v68
	v_fma_f32 v74, 0xbf3f9e67, v86, -v135
	v_mul_f32_e32 v135, 0xbf52af12, v71
	s_delay_alu instid0(VALU_DEP_4) | instskip(SKIP_1) | instid1(VALU_DEP_4)
	v_add_f32_e32 v127, v136, v127
	v_mul_f32_e32 v136, 0xbf3f9e67, v67
	v_dual_sub_f32 v68, v123, v68 :: v_dual_add_f32 v67, v74, v70
	v_fma_f32 v70, 0x3f116cb1, v93, -v137
	v_dual_mul_f32 v86, 0x3f116cb1, v69 :: v_dual_sub_f32 v125, v125, v138
	s_delay_alu instid0(VALU_DEP_3) | instskip(SKIP_1) | instid1(VALU_DEP_4)
	v_add_f32_e32 v68, v13, v68
	v_fmac_f32_e32 v95, 0xbf3f9e67, v72
	v_dual_add_f32 v67, v70, v67 :: v_dual_mul_f32 v138, 0x3f62ad3f, v72
	v_dual_mul_f32 v70, 0xbe750f2a, v71 :: v_dual_add_f32 v77, v85, v77
	v_mul_f32_e32 v74, 0xbf6f5d39, v71
	s_delay_alu instid0(VALU_DEP_3)
	v_add_f32_e32 v67, v97, v67
	v_mul_f32_e32 v97, 0x3df6dbef, v72
	v_mul_f32_e32 v123, 0xbf788fa5, v72
	v_add_f32_e32 v77, v95, v77
	v_dual_add_f32 v115, v136, v115 :: v_dual_mul_f32 v136, 0xbf6f5d39, v76
	v_sub_f32_e32 v107, v107, v133
	v_mul_f32_e32 v133, 0x3df6dbef, v79
	s_delay_alu instid0(VALU_DEP_4) | instskip(NEXT) | instid1(VALU_DEP_4)
	v_dual_add_f32 v77, v98, v77 :: v_dual_mul_f32 v98, 0xbeb58ec6, v72
	v_dual_mul_f32 v72, 0x3f116cb1, v72 :: v_dual_add_f32 v115, v12, v115
	v_mul_f32_e32 v95, 0xbf7e222b, v73
	s_delay_alu instid0(VALU_DEP_3) | instskip(NEXT) | instid1(VALU_DEP_3)
	v_dual_add_f32 v77, v106, v77 :: v_dual_mul_f32 v106, 0x3e750f2a, v76
	v_dual_mul_f32 v137, 0xbf3f9e67, v69 :: v_dual_add_f32 v72, v72, v119
	v_mul_f32_e32 v119, 0x3df6dbef, v75
	v_dual_add_f32 v99, v131, v99 :: v_dual_add_f32 v14, v12, v14
	s_delay_alu instid0(VALU_DEP_4) | instskip(SKIP_2) | instid1(VALU_DEP_4)
	v_dual_sub_f32 v106, v121, v106 :: v_dual_mul_f32 v121, 0x3eedf032, v80
	v_mul_f32_e32 v85, 0x3f29c268, v71
	v_sub_f32_e32 v57, v57, v74
	v_dual_add_f32 v103, v137, v103 :: v_dual_add_f32 v14, v14, v28
	s_delay_alu instid0(VALU_DEP_4) | instskip(SKIP_4) | instid1(VALU_DEP_4)
	v_sub_f32_e32 v121, v122, v121
	v_mul_f32_e32 v71, 0x3f7e222b, v71
	v_mul_f32_e32 v122, 0x3f62ad3f, v75
	v_dual_sub_f32 v70, v92, v70 :: v_dual_add_f32 v107, v13, v107
	v_dual_mul_f32 v137, 0x3f116cb1, v87 :: v_dual_add_f32 v30, v14, v30
	v_dual_sub_f32 v71, v124, v71 :: v_dual_mul_f32 v124, 0xbe750f2a, v73
	v_mul_f32_e32 v140, 0x3f62ad3f, v87
	v_add_f32_e32 v67, v101, v67
	v_add_f32_e32 v9, v15, v9
	s_delay_alu instid0(VALU_DEP_4) | instskip(SKIP_1) | instid1(VALU_DEP_3)
	v_dual_add_f32 v68, v71, v68 :: v_dual_mul_f32 v93, 0xbf788fa5, v69
	v_dual_mul_f32 v69, 0x3df6dbef, v69 :: v_dual_add_f32 v24, v30, v24
	v_add_f32_e32 v11, v9, v11
	s_delay_alu instid0(VALU_DEP_3) | instskip(NEXT) | instid1(VALU_DEP_3)
	v_dual_add_f32 v68, v125, v68 :: v_dual_mul_f32 v125, 0xbeb58ec6, v75
	v_dual_add_f32 v69, v69, v118 :: v_dual_mul_f32 v118, 0xbf3f9e67, v75
	s_delay_alu instid0(VALU_DEP_2) | instskip(SKIP_1) | instid1(VALU_DEP_3)
	v_dual_mul_f32 v75, 0xbf788fa5, v75 :: v_dual_add_f32 v68, v106, v68
	v_sub_f32_e32 v85, v109, v85
	v_add_f32_e32 v69, v69, v115
	v_mul_f32_e32 v115, 0x3eedf032, v76
	s_delay_alu instid0(VALU_DEP_4) | instskip(NEXT) | instid1(VALU_DEP_4)
	v_dual_add_f32 v75, v75, v116 :: v_dual_add_f32 v78, v93, v78
	v_add_f32_e32 v85, v85, v107
	v_mul_f32_e32 v107, 0xbf6f5d39, v88
	v_mul_f32_e32 v116, 0x3f62ad3f, v79
	;; [unrolled: 1-line block ×5, first 2 shown]
	v_dual_sub_f32 v107, v120, v107 :: v_dual_mul_f32 v120, 0xbe750f2a, v88
	v_add_f32_e32 v69, v72, v69
	v_dual_mul_f32 v73, 0x3eedf032, v73 :: v_dual_add_f32 v68, v121, v68
	v_add_f32_e32 v116, v116, v117
	s_delay_alu instid0(VALU_DEP_3) | instskip(SKIP_3) | instid1(VALU_DEP_4)
	v_dual_mul_f32 v72, 0xbf29c268, v80 :: v_dual_add_f32 v69, v75, v69
	v_dual_sub_f32 v76, v111, v76 :: v_dual_sub_f32 v71, v89, v71
	v_mul_f32_e32 v117, 0xbf52af12, v80
	v_sub_f32_e32 v21, v48, v95
	v_dual_add_f32 v116, v116, v69 :: v_dual_add_f32 v69, v107, v68
	v_dual_add_f32 v68, v12, v99 :: v_dual_sub_f32 v73, v110, v73
	v_add_f32_e32 v99, v138, v100
	v_mul_f32_e32 v109, 0x3f7e222b, v80
	v_mul_f32_e32 v80, 0x3e750f2a, v80
	s_delay_alu instid0(VALU_DEP_4)
	v_dual_mul_f32 v110, 0xbf788fa5, v87 :: v_dual_add_f32 v73, v73, v85
	v_add_f32_e32 v49, v13, v49
	v_add_f32_e32 v53, v123, v58
	;; [unrolled: 1-line block ×3, first 2 shown]
	v_sub_f32_e32 v15, v61, v120
	v_add_f32_e32 v73, v76, v73
	v_sub_f32_e32 v76, v108, v80
	v_dual_sub_f32 v80, v91, v134 :: v_dual_mul_f32 v121, 0xbf3f9e67, v79
	v_add_f32_e32 v49, v57, v49
	v_sub_f32_e32 v57, v63, v124
	s_delay_alu instid0(VALU_DEP_3) | instskip(SKIP_1) | instid1(VALU_DEP_3)
	v_dual_add_f32 v73, v76, v73 :: v_dual_add_f32 v76, v13, v80
	v_dual_add_f32 v91, v103, v68 :: v_dual_add_f32 v24, v24, v26
	v_add_f32_e32 v49, v57, v49
	s_delay_alu instid0(VALU_DEP_3) | instskip(NEXT) | instid1(VALU_DEP_3)
	v_dual_sub_f32 v57, v64, v106 :: v_dual_add_f32 v70, v70, v76
	v_add_f32_e32 v80, v99, v91
	s_delay_alu instid0(VALU_DEP_4) | instskip(NEXT) | instid1(VALU_DEP_3)
	v_dual_add_f32 v47, v53, v47 :: v_dual_add_f32 v20, v24, v20
	v_dual_add_f32 v49, v57, v49 :: v_dual_add_f32 v70, v71, v70
	v_sub_f32_e32 v71, v90, v115
	s_delay_alu instid0(VALU_DEP_3) | instskip(SKIP_1) | instid1(VALU_DEP_3)
	v_dual_sub_f32 v57, v66, v109 :: v_dual_add_f32 v20, v20, v22
	v_dual_add_f32 v24, v97, v46 :: v_dual_add_f32 v53, v118, v56
	v_dual_add_f32 v70, v71, v70 :: v_dual_sub_f32 v71, v94, v117
	s_delay_alu instid0(VALU_DEP_3) | instskip(SKIP_2) | instid1(VALU_DEP_4)
	v_add_f32_e32 v16, v20, v16
	v_mul_f32_e32 v85, 0x3eedf032, v88
	v_add_f32_e32 v49, v57, v49
	v_dual_add_f32 v29, v53, v47 :: v_dual_add_f32 v70, v71, v70
	s_delay_alu instid0(VALU_DEP_3) | instskip(SKIP_3) | instid1(VALU_DEP_4)
	v_dual_mul_f32 v131, 0xbf29c268, v88 :: v_dual_sub_f32 v28, v65, v85
	v_mul_f32_e32 v88, 0x3f52af12, v88
	v_add_f32_e32 v16, v16, v18
	v_sub_f32_e32 v20, v55, v72
	v_sub_f32_e32 v74, v96, v131
	v_mul_f32_e32 v111, 0xbf3f9e67, v87
	v_dual_mul_f32 v87, 0xbeb58ec6, v87 :: v_dual_add_f32 v14, v28, v49
	v_sub_f32_e32 v28, v43, v129
	v_sub_f32_e32 v88, v113, v88
	s_delay_alu instid0(VALU_DEP_3) | instskip(SKIP_1) | instid1(VALU_DEP_4)
	v_dual_add_f32 v8, v16, v8 :: v_dual_add_f32 v87, v87, v114
	v_add_f32_e32 v47, v133, v59
	v_add_f32_e32 v13, v13, v28
	v_sub_f32_e32 v28, v45, v135
	s_delay_alu instid0(VALU_DEP_4)
	v_add_f32_e32 v10, v8, v10
	v_add_f32_e32 v68, v87, v116
	v_add_f32_e32 v87, v119, v104
	v_mul_f32_e32 v75, 0x3f116cb1, v79
	v_mul_f32_e32 v79, 0xbf788fa5, v79
	v_dual_add_f32 v13, v28, v13 :: v_dual_add_f32 v16, v110, v60
	s_delay_alu instid0(VALU_DEP_4) | instskip(SKIP_2) | instid1(VALU_DEP_4)
	v_add_f32_e32 v76, v87, v80
	v_add_f32_e32 v80, v12, v52
	v_dual_add_f32 v12, v12, v25 :: v_dual_add_f32 v25, v86, v44
	v_add_f32_e32 v13, v21, v13
	v_dual_sub_f32 v21, v51, v136 :: v_dual_add_f32 v64, v74, v70
	s_delay_alu instid0(VALU_DEP_3) | instskip(SKIP_2) | instid1(VALU_DEP_3)
	v_dual_add_f32 v29, v47, v29 :: v_dual_add_f32 v12, v25, v12
	v_dual_add_f32 v52, v88, v73 :: v_dual_add_f32 v73, v78, v80
	v_add_f32_e32 v78, v98, v82
	v_dual_add_f32 v79, v79, v102 :: v_dual_add_f32 v12, v24, v12
	v_dual_add_f32 v13, v21, v13 :: v_dual_add_f32 v2, v10, v2
	s_delay_alu instid0(VALU_DEP_3) | instskip(SKIP_1) | instid1(VALU_DEP_4)
	v_add_f32_e32 v73, v78, v73
	v_add_f32_e32 v78, v122, v83
	v_dual_add_f32 v76, v79, v76 :: v_dual_add_f32 v79, v137, v105
	v_add_f32_e32 v12, v17, v12
	v_add_f32_e32 v17, v121, v54
	s_delay_alu instid0(VALU_DEP_4) | instskip(SKIP_2) | instid1(VALU_DEP_4)
	v_add_f32_e32 v71, v78, v73
	v_add_f32_e32 v73, v75, v84
	;; [unrolled: 1-line block ×3, first 2 shown]
	v_dual_add_f32 v3, v11, v3 :: v_dual_add_f32 v12, v17, v12
	v_add_f32_e32 v17, v140, v62
	s_delay_alu instid0(VALU_DEP_4) | instskip(SKIP_1) | instid1(VALU_DEP_4)
	v_add_f32_e32 v63, v73, v71
	v_add_f32_e32 v71, v111, v81
	v_dual_add_f32 v9, v15, v13 :: v_dual_add_f32 v8, v16, v12
	v_mad_u32_u24 v10, 0x60, v32, v40
	v_add_f32_e32 v13, v17, v29
	s_delay_alu instid0(VALU_DEP_4)
	v_add_f32_e32 v63, v71, v63
	v_dual_add_f32 v51, v79, v76 :: v_dual_add_f32 v66, v112, v77
	ds_store_2addr_b64 v10, v[2:3], v[8:9] offset1:1
	ds_store_2addr_b64 v10, v[13:14], v[63:64] offset0:2 offset1:3
	ds_store_2addr_b64 v10, v[51:52], v[68:69] offset0:4 offset1:5
	;; [unrolled: 1-line block ×5, first 2 shown]
	ds_store_b64 v10, v[0:1] offset:96
.LBB0_13:
	s_wait_alu 0xfffe
	s_or_b32 exec_lo, exec_lo, s1
	v_and_b32_e32 v2, 0xff, v32
	v_add_nc_u32_e32 v26, 0xb6, v32
	global_wb scope:SCOPE_SE
	s_wait_dscnt 0x0
	s_barrier_signal -1
	s_barrier_wait -1
	v_mul_lo_u16 v28, 0x4f, v2
	v_and_b32_e32 v2, 0xffff, v26
	global_inv scope:SCOPE_SE
	v_cmp_gt_u32_e64 s0, 26, v32
	v_lshrrev_b16 v29, 10, v28
	v_mul_u32_u24_e32 v27, 0x4ec5, v2
	s_delay_alu instid0(VALU_DEP_2) | instskip(NEXT) | instid1(VALU_DEP_2)
	v_mul_lo_u16 v3, v29, 13
	v_lshrrev_b32_e32 v30, 18, v27
	s_delay_alu instid0(VALU_DEP_2) | instskip(NEXT) | instid1(VALU_DEP_1)
	v_sub_nc_u16 v2, v32, v3
	v_and_b32_e32 v31, 0xff, v2
	s_delay_alu instid0(VALU_DEP_3) | instskip(SKIP_1) | instid1(VALU_DEP_3)
	v_mul_lo_u16 v2, v30, 13
	v_mul_u32_u24_e32 v30, 0x1a0, v30
	v_mul_u32_u24_e32 v3, 3, v31
	s_delay_alu instid0(VALU_DEP_3) | instskip(NEXT) | instid1(VALU_DEP_2)
	v_sub_nc_u16 v2, v26, v2
	v_lshlrev_b32_e32 v3, 3, v3
	s_delay_alu instid0(VALU_DEP_2)
	v_and_b32_e32 v45, 0xffff, v2
	s_clause 0x1
	global_load_b128 v[8:11], v3, s[4:5]
	global_load_b64 v[2:3], v3, s[4:5] offset:16
	v_mul_u32_u24_e32 v12, 3, v45
	v_add_nc_u32_e32 v20, 0x1600, v40
	s_delay_alu instid0(VALU_DEP_2)
	v_lshlrev_b32_e32 v16, 3, v12
	s_clause 0x1
	global_load_b128 v[12:15], v16, s[4:5]
	global_load_b64 v[24:25], v16, s[4:5] offset:16
	v_add_nc_u32_e32 v16, 0xa00, v40
	ds_load_2addr_b64 v[16:19], v16 offset0:44 offset1:226
	ds_load_2addr_b64 v[20:23], v20 offset0:24 offset1:206
	;; [unrolled: 1-line block ×3, first 2 shown]
	v_and_b32_e32 v29, 0xffff, v29
	v_add_nc_u32_e32 v50, 0x1a00, v40
	s_delay_alu instid0(VALU_DEP_2) | instskip(SKIP_3) | instid1(VALU_DEP_2)
	v_mul_u32_u24_e32 v29, 0x1a0, v29
	s_wait_loadcnt_dscnt 0x200
	v_mul_f32_e32 v51, v3, v42
	v_mul_f32_e32 v3, v3, v41
	v_fmac_f32_e32 v51, v2, v41
	s_delay_alu instid0(VALU_DEP_2)
	v_fma_f32 v2, v2, v42, -v3
	v_lshlrev_b32_e32 v49, 3, v45
	ds_load_2addr_b64 v[45:48], v40 offset1:182
	global_wb scope:SCOPE_SE
	s_wait_loadcnt_dscnt 0x0
	v_mul_f32_e32 v3, v13, v18
	s_barrier_signal -1
	v_add3_u32 v30, 0, v30, v49
	v_mul_f32_e32 v49, v11, v21
	s_barrier_wait -1
	global_inv scope:SCOPE_SE
	v_fmac_f32_e32 v49, v10, v20
	v_lshlrev_b32_e32 v31, 3, v31
	s_delay_alu instid0(VALU_DEP_1) | instskip(SKIP_2) | instid1(VALU_DEP_2)
	v_add3_u32 v29, 0, v29, v31
	v_mul_f32_e32 v31, v9, v17
	v_mul_f32_e32 v9, v9, v16
	v_fmac_f32_e32 v31, v8, v16
	s_delay_alu instid0(VALU_DEP_2) | instskip(SKIP_2) | instid1(VALU_DEP_3)
	v_fma_f32 v8, v8, v17, -v9
	v_mul_f32_e32 v16, v13, v19
	v_fma_f32 v17, v12, v19, -v3
	v_sub_f32_e32 v2, v8, v2
	s_delay_alu instid0(VALU_DEP_3) | instskip(SKIP_1) | instid1(VALU_DEP_3)
	v_fmac_f32_e32 v16, v12, v18
	v_dual_sub_f32 v12, v45, v49 :: v_dual_mul_f32 v11, v11, v20
	v_fma_f32 v8, v8, 2.0, -v2
	s_delay_alu instid0(VALU_DEP_2) | instskip(NEXT) | instid1(VALU_DEP_3)
	v_add_f32_e32 v2, v12, v2
	v_fma_f32 v9, v10, v21, -v11
	v_mul_f32_e32 v10, v15, v23
	v_mul_f32_e32 v11, v15, v22
	s_delay_alu instid0(VALU_DEP_2) | instskip(NEXT) | instid1(VALU_DEP_2)
	v_fmac_f32_e32 v10, v14, v22
	v_fma_f32 v11, v14, v23, -v11
	s_delay_alu instid0(VALU_DEP_2) | instskip(SKIP_1) | instid1(VALU_DEP_3)
	v_dual_sub_f32 v20, v47, v10 :: v_dual_mul_f32 v15, v25, v43
	v_sub_f32_e32 v3, v31, v51
	v_sub_f32_e32 v21, v48, v11
	s_delay_alu instid0(VALU_DEP_3) | instskip(NEXT) | instid1(VALU_DEP_4)
	v_fma_f32 v23, v47, 2.0, -v20
	v_fma_f32 v14, v24, v44, -v15
	v_fma_f32 v15, v45, 2.0, -v12
	v_fma_f32 v19, v31, 2.0, -v3
	v_mul_f32_e32 v13, v25, v44
	v_fma_f32 v12, v12, 2.0, -v2
	v_sub_f32_e32 v14, v17, v14
	s_delay_alu instid0(VALU_DEP_4) | instskip(NEXT) | instid1(VALU_DEP_4)
	v_sub_f32_e32 v10, v15, v19
	v_fmac_f32_e32 v13, v24, v43
	v_fma_f32 v24, v48, 2.0, -v21
	s_delay_alu instid0(VALU_DEP_4) | instskip(NEXT) | instid1(VALU_DEP_3)
	v_fma_f32 v17, v17, 2.0, -v14
	v_sub_f32_e32 v22, v16, v13
	s_delay_alu instid0(VALU_DEP_2) | instskip(NEXT) | instid1(VALU_DEP_2)
	v_sub_f32_e32 v17, v24, v17
	v_fma_f32 v16, v16, 2.0, -v22
	s_delay_alu instid0(VALU_DEP_1) | instskip(NEXT) | instid1(VALU_DEP_1)
	v_dual_sub_f32 v9, v46, v9 :: v_dual_sub_f32 v16, v23, v16
	v_fma_f32 v18, v46, 2.0, -v9
	v_sub_f32_e32 v3, v9, v3
	s_delay_alu instid0(VALU_DEP_2) | instskip(NEXT) | instid1(VALU_DEP_2)
	v_sub_f32_e32 v11, v18, v8
	v_fma_f32 v13, v9, 2.0, -v3
	v_add_f32_e32 v8, v20, v14
	v_sub_f32_e32 v9, v21, v22
	v_fma_f32 v14, v15, 2.0, -v10
	v_fma_f32 v15, v18, 2.0, -v11
	s_delay_alu instid0(VALU_DEP_4) | instskip(NEXT) | instid1(VALU_DEP_4)
	v_fma_f32 v18, v20, 2.0, -v8
	v_fma_f32 v19, v21, 2.0, -v9
	;; [unrolled: 1-line block ×4, first 2 shown]
	ds_store_2addr_b64 v29, v[10:11], v[2:3] offset0:26 offset1:39
	ds_store_2addr_b64 v29, v[14:15], v[12:13] offset1:13
	ds_store_2addr_b64 v30, v[16:17], v[8:9] offset0:26 offset1:39
	ds_store_2addr_b64 v30, v[20:21], v[18:19] offset1:13
	global_wb scope:SCOPE_SE
	s_wait_dscnt 0x0
	s_barrier_signal -1
	s_barrier_wait -1
	global_inv scope:SCOPE_SE
	ds_load_2addr_b64 v[12:15], v40 offset1:208
	ds_load_2addr_b64 v[20:23], v33 offset0:32 offset1:240
	ds_load_2addr_b64 v[16:19], v50 offset1:208
	ds_load_b64 v[24:25], v40 offset:9984
	s_and_saveexec_b32 s1, s0
	s_cbranch_execz .LBB0_15
; %bb.14:
	v_add_nc_u32_e32 v0, 0x500, v40
	v_add_nc_u32_e32 v2, 0x1800, v40
	ds_load_2addr_b64 v[8:11], v0 offset0:22 offset1:230
	v_add_nc_u32_e32 v1, 0x1000, v40
	v_add_nc_u32_e32 v0, 0x2600, v40
	s_wait_dscnt 0x0
	v_mov_b32_e32 v38, v10
	ds_load_2addr_b32 v[36:37], v1 offset0:172 offset1:173
	ds_load_2addr_b64 v[4:7], v2 offset0:38 offset1:246
	ds_load_2addr_b64 v[0:3], v0 offset0:6 offset1:214
	v_mov_b32_e32 v39, v11
.LBB0_15:
	s_wait_alu 0xfffe
	s_or_b32 exec_lo, exec_lo, s1
	v_lshrrev_b16 v10, 12, v28
	s_delay_alu instid0(VALU_DEP_1) | instskip(NEXT) | instid1(VALU_DEP_1)
	v_mul_lo_u16 v11, v10, 52
	v_sub_nc_u16 v11, v32, v11
	s_delay_alu instid0(VALU_DEP_1) | instskip(NEXT) | instid1(VALU_DEP_1)
	v_and_b32_e32 v11, 0xff, v11
	v_mul_u32_u24_e32 v28, 6, v11
	s_delay_alu instid0(VALU_DEP_1)
	v_lshlrev_b32_e32 v33, 3, v28
	s_clause 0x2
	global_load_b128 v[28:31], v33, s[4:5] offset:312
	global_load_b128 v[41:44], v33, s[4:5] offset:328
	;; [unrolled: 1-line block ×3, first 2 shown]
	v_and_b32_e32 v10, 0xffff, v10
	global_wb scope:SCOPE_SE
	s_wait_loadcnt_dscnt 0x0
	s_barrier_signal -1
	s_barrier_wait -1
	global_inv scope:SCOPE_SE
	v_mul_u32_u24_e32 v10, 0xb60, v10
	v_dual_mul_f32 v50, v42, v23 :: v_dual_mul_f32 v51, v44, v17
	v_dual_mul_f32 v42, v42, v22 :: v_dual_lshlrev_b32 v11, 3, v11
	v_mul_f32_e32 v44, v44, v16
	s_delay_alu instid0(VALU_DEP_3) | instskip(SKIP_1) | instid1(VALU_DEP_4)
	v_dual_mul_f32 v53, v48, v25 :: v_dual_fmac_f32 v50, v41, v22
	v_mul_f32_e32 v48, v48, v24
	v_add3_u32 v33, 0, v10, v11
	v_mul_f32_e32 v10, v29, v15
	v_mul_f32_e32 v11, v29, v14
	v_mul_f32_e32 v29, v31, v21
	v_mul_f32_e32 v31, v31, v20
	v_dual_mul_f32 v52, v46, v19 :: v_dual_add_nc_u32 v49, 0x400, v33
	v_mul_f32_e32 v46, v46, v18
	s_delay_alu instid0(VALU_DEP_4)
	v_dual_fmac_f32 v10, v28, v14 :: v_dual_fmac_f32 v29, v30, v20
	v_fma_f32 v11, v28, v15, -v11
	v_fma_f32 v14, v30, v21, -v31
	v_dual_fmac_f32 v51, v43, v16 :: v_dual_fmac_f32 v52, v45, v18
	v_fma_f32 v16, v47, v25, -v48
	v_fma_f32 v18, v45, v19, -v46
	v_fmac_f32_e32 v53, v47, v24
	v_fma_f32 v15, v41, v23, -v42
	v_fma_f32 v17, v43, v17, -v44
	v_add_f32_e32 v20, v11, v16
	v_sub_f32_e32 v11, v11, v16
	v_dual_add_f32 v16, v29, v52 :: v_dual_add_f32 v21, v14, v18
	v_sub_f32_e32 v22, v29, v52
	v_sub_f32_e32 v14, v14, v18
	v_add_f32_e32 v19, v10, v53
	v_sub_f32_e32 v10, v10, v53
	v_dual_add_f32 v18, v50, v51 :: v_dual_add_f32 v25, v21, v20
	v_add_f32_e32 v23, v15, v17
	v_dual_sub_f32 v24, v51, v50 :: v_dual_sub_f32 v15, v17, v15
	v_add_f32_e32 v17, v16, v19
	v_dual_sub_f32 v28, v16, v19 :: v_dual_sub_f32 v29, v21, v20
	s_delay_alu instid0(VALU_DEP_4)
	v_dual_sub_f32 v19, v19, v18 :: v_dual_sub_f32 v20, v20, v23
	v_dual_sub_f32 v16, v18, v16 :: v_dual_sub_f32 v21, v23, v21
	v_add_f32_e32 v30, v24, v22
	v_add_f32_e32 v31, v15, v14
	v_sub_f32_e32 v41, v24, v22
	v_dual_sub_f32 v42, v15, v14 :: v_dual_add_f32 v17, v18, v17
	v_sub_f32_e32 v14, v14, v11
	v_dual_add_f32 v18, v23, v25 :: v_dual_add_f32 v23, v30, v10
	v_dual_sub_f32 v24, v10, v24 :: v_dual_sub_f32 v15, v11, v15
	v_dual_sub_f32 v22, v22, v10 :: v_dual_add_f32 v25, v31, v11
	v_dual_mul_f32 v20, 0x3f4a47b2, v20 :: v_dual_mul_f32 v19, 0x3f4a47b2, v19
	v_add_f32_e32 v10, v17, v12
	v_dual_mul_f32 v30, 0x3d64c772, v16 :: v_dual_mul_f32 v31, 0x3d64c772, v21
	v_dual_mul_f32 v41, 0x3f08b237, v41 :: v_dual_mul_f32 v42, 0x3f08b237, v42
	v_dual_mul_f32 v44, 0xbf5ff5aa, v14 :: v_dual_add_f32 v11, v18, v13
	v_dual_fmamk_f32 v12, v16, 0x3d64c772, v19 :: v_dual_fmamk_f32 v13, v21, 0x3d64c772, v20
	s_delay_alu instid0(VALU_DEP_4)
	v_fma_f32 v16, 0x3f3bfb3b, v28, -v30
	v_fma_f32 v21, 0x3f3bfb3b, v29, -v31
	;; [unrolled: 1-line block ×4, first 2 shown]
	v_dual_fmamk_f32 v28, v24, 0xbeae86e6, v41 :: v_dual_fmamk_f32 v29, v15, 0xbeae86e6, v42
	v_fma_f32 v30, 0xbf5ff5aa, v14, -v42
	v_fma_f32 v31, 0x3eae86e6, v15, -v44
	v_dual_fmamk_f32 v14, v17, 0xbf955555, v10 :: v_dual_fmamk_f32 v15, v18, 0xbf955555, v11
	v_mul_f32_e32 v43, 0xbf5ff5aa, v22
	v_fma_f32 v22, 0xbf5ff5aa, v22, -v41
	v_dual_fmac_f32 v28, 0xbee1c552, v23 :: v_dual_fmac_f32 v29, 0xbee1c552, v25
	s_delay_alu instid0(VALU_DEP_4) | instskip(NEXT) | instid1(VALU_DEP_4)
	v_add_f32_e32 v42, v20, v15
	v_fma_f32 v24, 0x3eae86e6, v24, -v43
	s_delay_alu instid0(VALU_DEP_4) | instskip(SKIP_2) | instid1(VALU_DEP_4)
	v_dual_fmac_f32 v22, 0xbee1c552, v23 :: v_dual_fmac_f32 v31, 0xbee1c552, v25
	v_dual_fmac_f32 v30, 0xbee1c552, v25 :: v_dual_add_f32 v25, v13, v15
	v_add_f32_e32 v18, v16, v14
	v_dual_fmac_f32 v24, 0xbee1c552, v23 :: v_dual_add_f32 v41, v19, v14
	v_add_f32_e32 v23, v12, v14
	v_add_f32_e32 v19, v21, v15
	s_delay_alu instid0(VALU_DEP_4) | instskip(NEXT) | instid1(VALU_DEP_4)
	v_dual_sub_f32 v13, v25, v28 :: v_dual_sub_f32 v16, v18, v30
	v_add_f32_e32 v14, v31, v41
	s_delay_alu instid0(VALU_DEP_4) | instskip(NEXT) | instid1(VALU_DEP_4)
	v_dual_add_f32 v12, v29, v23 :: v_dual_sub_f32 v15, v42, v24
	v_add_f32_e32 v17, v22, v19
	v_add_f32_e32 v18, v30, v18
	v_dual_sub_f32 v19, v19, v22 :: v_dual_sub_f32 v20, v41, v31
	v_dual_add_f32 v21, v24, v42 :: v_dual_sub_f32 v22, v23, v29
	v_add_f32_e32 v23, v28, v25
	ds_store_2addr_b64 v33, v[10:11], v[12:13] offset1:52
	ds_store_2addr_b64 v33, v[14:15], v[16:17] offset0:104 offset1:156
	ds_store_2addr_b64 v49, v[18:19], v[20:21] offset0:80 offset1:132
	ds_store_b64 v33, v[22:23] offset:2496
	s_and_saveexec_b32 s1, s0
	s_cbranch_execz .LBB0_17
; %bb.16:
	v_lshrrev_b32_e32 v10, 20, v27
	s_delay_alu instid0(VALU_DEP_1) | instskip(NEXT) | instid1(VALU_DEP_1)
	v_mul_lo_u16 v10, v10, 52
	v_sub_nc_u16 v10, v26, v10
	s_delay_alu instid0(VALU_DEP_1) | instskip(NEXT) | instid1(VALU_DEP_1)
	v_and_b32_e32 v22, 0xffff, v10
	v_mul_u32_u24_e32 v10, 6, v22
	s_delay_alu instid0(VALU_DEP_1)
	v_lshlrev_b32_e32 v18, 3, v10
	s_clause 0x2
	global_load_b128 v[10:13], v18, s[4:5] offset:312
	global_load_b128 v[14:17], v18, s[4:5] offset:344
	;; [unrolled: 1-line block ×3, first 2 shown]
	s_wait_loadcnt 0x2
	v_mul_f32_e32 v25, v39, v11
	v_lshl_add_u32 v22, v22, 3, 0
	s_wait_loadcnt 0x0
	v_dual_mul_f32 v27, v7, v21 :: v_dual_mul_f32 v28, v5, v19
	v_dual_mul_f32 v30, v1, v15 :: v_dual_mul_f32 v21, v6, v21
	s_delay_alu instid0(VALU_DEP_3) | instskip(SKIP_2) | instid1(VALU_DEP_3)
	v_dual_mul_f32 v26, v3, v17 :: v_dual_add_nc_u32 v23, 0x2000, v22
	v_dual_mul_f32 v29, v37, v13 :: v_dual_add_nc_u32 v24, 0x2800, v22
	v_mul_f32_e32 v17, v2, v17
	v_dual_mul_f32 v19, v4, v19 :: v_dual_fmac_f32 v26, v2, v16
	v_dual_mul_f32 v11, v38, v11 :: v_dual_fmac_f32 v28, v4, v18
	v_dual_fmac_f32 v27, v6, v20 :: v_dual_fmac_f32 v30, v0, v14
	v_fma_f32 v4, v7, v20, -v21
	v_fmac_f32_e32 v25, v38, v10
	v_mul_f32_e32 v15, v0, v15
	v_fmac_f32_e32 v29, v36, v12
	v_mul_f32_e32 v13, v36, v13
	v_fma_f32 v0, v3, v16, -v17
	v_fma_f32 v3, v5, v18, -v19
	v_fma_f32 v2, v39, v10, -v11
	v_sub_f32_e32 v10, v29, v30
	v_fma_f32 v5, v37, v12, -v13
	s_delay_alu instid0(VALU_DEP_4) | instskip(SKIP_4) | instid1(VALU_DEP_3)
	v_add_f32_e32 v12, v3, v4
	v_sub_f32_e32 v6, v25, v26
	v_fma_f32 v1, v1, v14, -v15
	v_dual_add_f32 v14, v25, v26 :: v_dual_sub_f32 v7, v27, v28
	v_dual_add_f32 v16, v29, v30 :: v_dual_add_f32 v11, v2, v0
	v_dual_add_f32 v13, v5, v1 :: v_dual_sub_f32 v0, v2, v0
	v_add_f32_e32 v15, v28, v27
	v_sub_f32_e32 v2, v4, v3
	v_dual_sub_f32 v4, v7, v10 :: v_dual_sub_f32 v1, v5, v1
	s_delay_alu instid0(VALU_DEP_4) | instskip(NEXT) | instid1(VALU_DEP_2)
	v_dual_add_f32 v5, v7, v10 :: v_dual_add_f32 v18, v13, v11
	v_dual_sub_f32 v19, v14, v15 :: v_dual_mul_f32 v4, 0x3f08b237, v4
	v_dual_sub_f32 v20, v15, v16 :: v_dual_sub_f32 v3, v6, v7
	s_delay_alu instid0(VALU_DEP_4)
	v_dual_sub_f32 v7, v11, v12 :: v_dual_sub_f32 v26, v2, v1
	v_add_f32_e32 v21, v16, v14
	v_dual_sub_f32 v17, v12, v13 :: v_dual_sub_f32 v10, v10, v6
	v_dual_sub_f32 v25, v0, v2 :: v_dual_add_f32 v2, v2, v1
	v_dual_sub_f32 v11, v13, v11 :: v_dual_add_f32 v12, v12, v18
	v_dual_sub_f32 v13, v16, v14 :: v_dual_mul_f32 v16, 0x3f4a47b2, v19
	v_dual_sub_f32 v14, v1, v0 :: v_dual_add_f32 v15, v15, v21
	v_mul_f32_e32 v19, 0x3f08b237, v26
	v_dual_add_f32 v5, v5, v6 :: v_dual_mul_f32 v18, 0x3d64c772, v20
	v_mul_f32_e32 v6, 0x3f4a47b2, v7
	v_dual_mul_f32 v7, 0x3d64c772, v17 :: v_dual_add_f32 v2, v2, v0
	v_mul_f32_e32 v21, 0xbf5ff5aa, v10
	v_dual_mul_f32 v26, 0xbf5ff5aa, v14 :: v_dual_add_f32 v1, v9, v12
	v_fmamk_f32 v9, v20, 0x3d64c772, v16
	v_dual_add_f32 v0, v8, v15 :: v_dual_fmamk_f32 v27, v3, 0xbeae86e6, v4
	v_fmamk_f32 v20, v25, 0xbeae86e6, v19
	v_fma_f32 v21, 0x3eae86e6, v3, -v21
	v_fma_f32 v3, 0xbf3bfb3b, v11, -v6
	;; [unrolled: 1-line block ×5, first 2 shown]
	v_fmamk_f32 v11, v15, 0xbf955555, v0
	v_fmac_f32_e32 v20, 0xbee1c552, v2
	v_fmamk_f32 v10, v12, 0xbf955555, v1
	v_fmamk_f32 v17, v17, 0x3d64c772, v6
	v_fma_f32 v6, 0xbf3bfb3b, v13, -v16
	v_fma_f32 v16, 0x3eae86e6, v25, -v26
	;; [unrolled: 1-line block ×3, first 2 shown]
	v_dual_add_f32 v12, v3, v10 :: v_dual_fmac_f32 v27, 0xbee1c552, v5
	v_dual_fmac_f32 v21, 0xbee1c552, v5 :: v_dual_fmac_f32 v14, 0xbee1c552, v2
	s_delay_alu instid0(VALU_DEP_4) | instskip(SKIP_4) | instid1(VALU_DEP_4)
	v_fmac_f32_e32 v16, 0xbee1c552, v2
	v_add_f32_e32 v2, v17, v10
	v_dual_fmac_f32 v8, 0xbee1c552, v5 :: v_dual_add_f32 v15, v9, v11
	v_dual_add_f32 v6, v6, v11 :: v_dual_add_f32 v9, v7, v10
	v_add_f32_e32 v17, v4, v11
	v_add_f32_e32 v3, v27, v2
	s_delay_alu instid0(VALU_DEP_3)
	v_dual_add_f32 v5, v21, v12 :: v_dual_add_f32 v10, v16, v6
	v_sub_f32_e32 v11, v12, v21
	v_sub_f32_e32 v13, v2, v27
	v_add_f32_e32 v12, v20, v15
	v_sub_f32_e32 v4, v6, v16
	v_sub_f32_e32 v2, v15, v20
	v_dual_sub_f32 v7, v9, v8 :: v_dual_add_f32 v6, v14, v17
	v_dual_add_f32 v9, v8, v9 :: v_dual_sub_f32 v8, v17, v14
	ds_store_2addr_b64 v23, v[0:1], v[12:13] offset0:68 offset1:120
	ds_store_2addr_b64 v23, v[10:11], v[8:9] offset0:172 offset1:224
	;; [unrolled: 1-line block ×3, first 2 shown]
	ds_store_b64 v22, v[2:3] offset:11232
.LBB0_17:
	s_wait_alu 0xfffe
	s_or_b32 exec_lo, exec_lo, s1
	v_dual_mov_b32 v33, 0 :: v_dual_add_nc_u32 v28, 0x1600, v40
	global_wb scope:SCOPE_SE
	s_wait_dscnt 0x0
	s_barrier_signal -1
	s_barrier_wait -1
	v_lshlrev_b64_e32 v[0:1], 3, v[32:33]
	global_inv scope:SCOPE_SE
	v_add_co_u32 v2, s0, s4, v0
	s_wait_alu 0xf1ff
	v_add_co_ci_u32_e64 v3, s0, s5, v1, s0
	v_cmp_ne_u32_e64 s0, 0, v32
	s_clause 0x1
	global_load_b64 v[20:21], v[2:3], off offset:2808
	global_load_b64 v[22:23], v[2:3], off offset:4264
	v_add_nc_u32_e32 v29, 0x2000, v40
	ds_load_2addr_b64 v[4:7], v28 offset0:24 offset1:206
	ds_load_2addr_b64 v[8:11], v29 offset0:68 offset1:250
	v_add_nc_u32_e32 v30, 0xa00, v40
	s_wait_loadcnt_dscnt 0x1
	v_dual_mul_f32 v25, v21, v4 :: v_dual_mul_f32 v26, v23, v7
	v_mul_f32_e32 v27, v23, v6
	ds_load_2addr_b64 v[12:15], v40 offset1:182
	ds_load_2addr_b64 v[16:19], v30 offset0:44 offset1:226
	v_mul_f32_e32 v24, v21, v5
	s_wait_dscnt 0x2
	v_mul_f32_e32 v31, v21, v9
	v_dual_mul_f32 v21, v21, v8 :: v_dual_fmac_f32 v26, v22, v6
	v_fma_f32 v5, v20, v5, -v25
	v_dual_fmac_f32 v24, v20, v4 :: v_dual_mul_f32 v33, v23, v11
	s_delay_alu instid0(VALU_DEP_4)
	v_fmac_f32_e32 v31, v20, v8
	v_fma_f32 v7, v22, v7, -v27
	v_fma_f32 v9, v20, v9, -v21
	global_wb scope:SCOPE_SE
	s_wait_dscnt 0x0
	s_barrier_signal -1
	s_barrier_wait -1
	global_inv scope:SCOPE_SE
	v_sub_f32_e32 v6, v14, v26
	v_dual_mul_f32 v23, v23, v10 :: v_dual_sub_f32 v8, v16, v31
	v_dual_sub_f32 v4, v12, v24 :: v_dual_fmac_f32 v33, v22, v10
	v_sub_f32_e32 v5, v13, v5
	s_delay_alu instid0(VALU_DEP_3)
	v_fma_f32 v11, v22, v11, -v23
	v_sub_f32_e32 v7, v15, v7
	v_sub_f32_e32 v9, v17, v9
	;; [unrolled: 1-line block ×3, first 2 shown]
	v_fma_f32 v12, v12, 2.0, -v4
	v_sub_f32_e32 v11, v19, v11
	v_fma_f32 v13, v13, 2.0, -v5
	v_fma_f32 v14, v14, 2.0, -v6
	v_fma_f32 v15, v15, 2.0, -v7
	v_fma_f32 v16, v16, 2.0, -v8
	v_fma_f32 v17, v17, 2.0, -v9
	v_fma_f32 v18, v18, 2.0, -v10
	v_fma_f32 v19, v19, 2.0, -v11
	ds_store_2addr_b64 v30, v[4:5], v[6:7] offset0:44 offset1:226
	ds_store_2addr_b64 v29, v[8:9], v[10:11] offset0:68 offset1:250
	ds_store_2addr_b64 v40, v[12:13], v[14:15] offset1:182
	ds_store_2addr_b64 v28, v[16:17], v[18:19] offset0:24 offset1:206
	global_wb scope:SCOPE_SE
	s_wait_dscnt 0x0
	s_barrier_signal -1
	s_barrier_wait -1
	global_inv scope:SCOPE_SE
	s_clause 0x3
	global_load_b64 v[20:21], v[2:3], off offset:5720
	global_load_b64 v[22:23], v[2:3], off offset:7176
	;; [unrolled: 1-line block ×4, first 2 shown]
	ds_load_2addr_b64 v[4:7], v28 offset0:24 offset1:206
	ds_load_2addr_b64 v[8:11], v29 offset0:68 offset1:250
	ds_load_2addr_b64 v[12:15], v40 offset1:182
	ds_load_2addr_b64 v[16:19], v30 offset0:44 offset1:226
	global_wb scope:SCOPE_SE
	s_wait_loadcnt_dscnt 0x0
	s_barrier_signal -1
	s_barrier_wait -1
	global_inv scope:SCOPE_SE
	v_dual_mul_f32 v33, v23, v7 :: v_dual_mul_f32 v36, v25, v9
	v_mul_f32_e32 v37, v27, v11
	v_mul_f32_e32 v23, v23, v6
	v_mul_f32_e32 v25, v25, v8
	s_delay_alu instid0(VALU_DEP_4)
	v_dual_mul_f32 v27, v27, v10 :: v_dual_fmac_f32 v36, v24, v8
	v_mul_f32_e32 v31, v21, v5
	v_fmac_f32_e32 v37, v26, v10
	v_mul_f32_e32 v21, v21, v4
	v_fmac_f32_e32 v33, v22, v6
	v_fma_f32 v7, v22, v7, -v23
	v_sub_f32_e32 v8, v16, v36
	v_dual_sub_f32 v10, v18, v37 :: v_dual_fmac_f32 v31, v20, v4
	v_fma_f32 v5, v20, v5, -v21
	v_fma_f32 v9, v24, v9, -v25
	;; [unrolled: 1-line block ×3, first 2 shown]
	v_sub_f32_e32 v6, v14, v33
	s_delay_alu instid0(VALU_DEP_4) | instskip(SKIP_3) | instid1(VALU_DEP_4)
	v_dual_sub_f32 v4, v12, v31 :: v_dual_sub_f32 v5, v13, v5
	v_sub_f32_e32 v7, v15, v7
	v_sub_f32_e32 v9, v17, v9
	;; [unrolled: 1-line block ×3, first 2 shown]
	v_fma_f32 v12, v12, 2.0, -v4
	v_fma_f32 v13, v13, 2.0, -v5
	;; [unrolled: 1-line block ×8, first 2 shown]
	ds_store_2addr_b64 v28, v[4:5], v[6:7] offset0:24 offset1:206
	ds_store_2addr_b64 v29, v[8:9], v[10:11] offset0:68 offset1:250
	ds_store_2addr_b64 v40, v[12:13], v[14:15] offset1:182
	ds_store_2addr_b64 v30, v[16:17], v[18:19] offset0:44 offset1:226
	global_wb scope:SCOPE_SE
	s_wait_dscnt 0x0
	s_barrier_signal -1
	s_barrier_wait -1
	global_inv scope:SCOPE_SE
	ds_load_b64 v[6:7], v40
	v_lshlrev_b32_e32 v4, 3, v32
                                        ; implicit-def: $vgpr9
                                        ; implicit-def: $vgpr10
	s_delay_alu instid0(VALU_DEP_1)
	v_sub_nc_u32_e32 v8, 0, v4
                                        ; implicit-def: $vgpr4
	s_and_saveexec_b32 s1, s0
	s_wait_alu 0xfffe
	s_xor_b32 s0, exec_lo, s1
	s_cbranch_execz .LBB0_19
; %bb.18:
	global_load_b64 v[2:3], v[2:3], off offset:11544
	ds_load_b64 v[4:5], v8 offset:11648
	s_wait_dscnt 0x0
	v_dual_sub_f32 v9, v6, v4 :: v_dual_add_f32 v10, v5, v7
	v_dual_sub_f32 v5, v7, v5 :: v_dual_add_f32 v4, v4, v6
	s_delay_alu instid0(VALU_DEP_2) | instskip(SKIP_1) | instid1(VALU_DEP_1)
	v_dual_mul_f32 v7, 0.5, v9 :: v_dual_mul_f32 v6, 0.5, v10
	s_wait_loadcnt 0x0
	v_dual_mul_f32 v5, 0.5, v5 :: v_dual_mul_f32 v10, v3, v7
	s_delay_alu instid0(VALU_DEP_1) | instskip(SKIP_1) | instid1(VALU_DEP_3)
	v_fma_f32 v11, v6, v3, v5
	v_fma_f32 v3, v6, v3, -v5
	v_fma_f32 v9, 0.5, v4, v10
	v_fma_f32 v4, v4, 0.5, -v10
	s_delay_alu instid0(VALU_DEP_4) | instskip(NEXT) | instid1(VALU_DEP_4)
	v_fma_f32 v10, -v2, v7, v11
	v_fma_f32 v5, -v2, v7, v3
	s_delay_alu instid0(VALU_DEP_4) | instskip(NEXT) | instid1(VALU_DEP_4)
	v_fmac_f32_e32 v9, v2, v6
	v_fma_f32 v4, -v2, v6, v4
                                        ; implicit-def: $vgpr6_vgpr7
.LBB0_19:
	s_wait_alu 0xfffe
	s_and_not1_saveexec_b32 s0, s0
	s_cbranch_execz .LBB0_21
; %bb.20:
	s_wait_dscnt 0x0
	v_dual_mov_b32 v10, 0 :: v_dual_add_f32 v9, v6, v7
	v_dual_sub_f32 v4, v6, v7 :: v_dual_mov_b32 v5, 0
	ds_load_b32 v2, v10 offset:5828
	s_wait_dscnt 0x0
	v_xor_b32_e32 v2, 0x80000000, v2
	ds_store_b32 v10, v2 offset:5828
.LBB0_21:
	s_wait_alu 0xfffe
	s_or_b32 exec_lo, exec_lo, s0
	s_add_nc_u64 s[0:1], s[4:5], 0x2d18
	s_wait_alu 0xfffe
	v_add_co_u32 v2, s0, s0, v0
	s_wait_alu 0xf1ff
	v_add_co_ci_u32_e64 v3, s0, s1, v1, s0
	s_wait_dscnt 0x0
	s_clause 0x2
	global_load_b64 v[6:7], v[2:3], off offset:1456
	global_load_b64 v[11:12], v[2:3], off offset:2912
	;; [unrolled: 1-line block ×3, first 2 shown]
	ds_store_2addr_b32 v40, v9, v10 offset1:1
	ds_store_b64 v8, v[4:5] offset:11648
	ds_load_b64 v[4:5], v40 offset:1456
	ds_load_b64 v[9:10], v8 offset:10192
	s_wait_dscnt 0x0
	v_dual_sub_f32 v13, v4, v9 :: v_dual_add_f32 v14, v5, v10
	v_dual_sub_f32 v5, v5, v10 :: v_dual_add_f32 v4, v4, v9
	s_delay_alu instid0(VALU_DEP_2) | instskip(NEXT) | instid1(VALU_DEP_2)
	v_dual_mul_f32 v10, 0.5, v13 :: v_dual_mul_f32 v13, 0.5, v14
	v_mul_f32_e32 v5, 0.5, v5
	s_wait_loadcnt 0x2
	s_delay_alu instid0(VALU_DEP_2) | instskip(NEXT) | instid1(VALU_DEP_2)
	v_mul_f32_e32 v9, v7, v10
	v_fma_f32 v14, v13, v7, v5
	v_fma_f32 v5, v13, v7, -v5
	s_delay_alu instid0(VALU_DEP_3)
	v_fma_f32 v7, 0.5, v4, v9
	v_fma_f32 v4, v4, 0.5, -v9
	v_add_nc_u32_e32 v9, 0x400, v40
	v_fma_f32 v14, -v6, v10, v14
	v_fma_f32 v5, -v6, v10, v5
	v_fmac_f32_e32 v7, v6, v13
	v_fma_f32 v4, -v6, v13, v4
	ds_store_2addr_b32 v9, v7, v14 offset0:108 offset1:109
	ds_store_b64 v8, v[4:5] offset:10192
	ds_load_b64 v[4:5], v40 offset:2912
	ds_load_b64 v[6:7], v8 offset:8736
	s_wait_dscnt 0x0
	v_dual_sub_f32 v9, v4, v6 :: v_dual_add_f32 v10, v5, v7
	v_dual_sub_f32 v5, v5, v7 :: v_dual_add_f32 v4, v4, v6
	s_delay_alu instid0(VALU_DEP_2) | instskip(NEXT) | instid1(VALU_DEP_3)
	v_mul_f32_e32 v7, 0.5, v9
	v_mul_f32_e32 v9, 0.5, v10
	s_wait_loadcnt 0x1
	s_delay_alu instid0(VALU_DEP_2) | instskip(NEXT) | instid1(VALU_DEP_1)
	v_dual_mul_f32 v5, 0.5, v5 :: v_dual_mul_f32 v6, v12, v7
	v_fma_f32 v10, v9, v12, v5
	v_fma_f32 v5, v9, v12, -v5
	s_delay_alu instid0(VALU_DEP_3)
	v_fma_f32 v12, 0.5, v4, v6
	v_fma_f32 v4, v4, 0.5, -v6
	v_add_nc_u32_e32 v6, 0x800, v40
	v_fma_f32 v10, -v11, v7, v10
	v_fma_f32 v5, -v11, v7, v5
	v_fmac_f32_e32 v12, v11, v9
	v_fma_f32 v4, -v11, v9, v4
	ds_store_2addr_b32 v6, v12, v10 offset0:216 offset1:217
	ds_store_b64 v8, v[4:5] offset:8736
	ds_load_b64 v[4:5], v40 offset:4368
	ds_load_b64 v[6:7], v8 offset:7280
	s_wait_dscnt 0x0
	v_dual_sub_f32 v9, v4, v6 :: v_dual_add_f32 v10, v5, v7
	v_dual_sub_f32 v5, v5, v7 :: v_dual_add_f32 v4, v4, v6
	s_delay_alu instid0(VALU_DEP_2) | instskip(NEXT) | instid1(VALU_DEP_3)
	v_mul_f32_e32 v7, 0.5, v9
	v_mul_f32_e32 v9, 0.5, v10
	s_wait_loadcnt 0x0
	s_delay_alu instid0(VALU_DEP_2) | instskip(NEXT) | instid1(VALU_DEP_1)
	v_dual_mul_f32 v5, 0.5, v5 :: v_dual_mul_f32 v6, v3, v7
	v_fma_f32 v10, v9, v3, v5
	v_fma_f32 v3, v9, v3, -v5
	s_delay_alu instid0(VALU_DEP_3)
	v_fma_f32 v5, 0.5, v4, v6
	v_fma_f32 v4, v4, 0.5, -v6
	v_add_nc_u32_e32 v6, 0x1000, v40
	v_fma_f32 v10, -v2, v7, v10
	v_fma_f32 v3, -v2, v7, v3
	v_fmac_f32_e32 v5, v2, v9
	v_fma_f32 v2, -v2, v9, v4
	ds_store_2addr_b32 v6, v5, v10 offset0:68 offset1:69
	ds_store_b64 v8, v[2:3] offset:7280
	global_wb scope:SCOPE_SE
	s_wait_dscnt 0x0
	s_barrier_signal -1
	s_barrier_wait -1
	global_inv scope:SCOPE_SE
	s_and_saveexec_b32 s0, vcc_lo
	s_cbranch_execz .LBB0_24
; %bb.22:
	v_add_nc_u32_e32 v2, 0xa00, v40
	v_add_nc_u32_e32 v3, 0x1600, v40
	;; [unrolled: 1-line block ×3, first 2 shown]
	ds_load_2addr_b64 v[4:7], v40 offset1:182
	ds_load_2addr_b64 v[8:11], v2 offset0:44 offset1:226
	ds_load_2addr_b64 v[12:15], v3 offset0:24 offset1:206
	;; [unrolled: 1-line block ×3, first 2 shown]
	v_add_co_u32 v2, vcc_lo, s8, v34
	s_wait_alu 0xfffd
	v_add_co_ci_u32_e32 v3, vcc_lo, s9, v35, vcc_lo
	s_delay_alu instid0(VALU_DEP_2) | instskip(SKIP_1) | instid1(VALU_DEP_2)
	v_add_co_u32 v0, vcc_lo, v2, v0
	s_wait_alu 0xfffd
	v_add_co_ci_u32_e32 v1, vcc_lo, v3, v1, vcc_lo
	v_cmp_eq_u32_e32 vcc_lo, 0xb5, v32
	s_wait_dscnt 0x3
	s_clause 0x1
	global_store_b64 v[0:1], v[4:5], off
	global_store_b64 v[0:1], v[6:7], off offset:1456
	s_wait_dscnt 0x2
	s_clause 0x1
	global_store_b64 v[0:1], v[8:9], off offset:2912
	global_store_b64 v[0:1], v[10:11], off offset:4368
	s_wait_dscnt 0x1
	s_clause 0x1
	global_store_b64 v[0:1], v[12:13], off offset:5824
	;; [unrolled: 4-line block ×3, first 2 shown]
	global_store_b64 v[0:1], v[18:19], off offset:10192
	s_and_b32 exec_lo, exec_lo, vcc_lo
	s_cbranch_execz .LBB0_24
; %bb.23:
	v_mov_b32_e32 v0, 0
	ds_load_b64 v[0:1], v0 offset:11648
	s_wait_dscnt 0x0
	global_store_b64 v[2:3], v[0:1], off offset:11648
.LBB0_24:
	s_nop 0
	s_sendmsg sendmsg(MSG_DEALLOC_VGPRS)
	s_endpgm
	.section	.rodata,"a",@progbits
	.p2align	6, 0x0
	.amdhsa_kernel fft_rtc_back_len1456_factors_13_4_7_2_2_wgs_182_tpt_182_halfLds_sp_ip_CI_unitstride_sbrr_R2C_dirReg
		.amdhsa_group_segment_fixed_size 0
		.amdhsa_private_segment_fixed_size 0
		.amdhsa_kernarg_size 88
		.amdhsa_user_sgpr_count 2
		.amdhsa_user_sgpr_dispatch_ptr 0
		.amdhsa_user_sgpr_queue_ptr 0
		.amdhsa_user_sgpr_kernarg_segment_ptr 1
		.amdhsa_user_sgpr_dispatch_id 0
		.amdhsa_user_sgpr_private_segment_size 0
		.amdhsa_wavefront_size32 1
		.amdhsa_uses_dynamic_stack 0
		.amdhsa_enable_private_segment 0
		.amdhsa_system_sgpr_workgroup_id_x 1
		.amdhsa_system_sgpr_workgroup_id_y 0
		.amdhsa_system_sgpr_workgroup_id_z 0
		.amdhsa_system_sgpr_workgroup_info 0
		.amdhsa_system_vgpr_workitem_id 0
		.amdhsa_next_free_vgpr 142
		.amdhsa_next_free_sgpr 32
		.amdhsa_reserve_vcc 1
		.amdhsa_float_round_mode_32 0
		.amdhsa_float_round_mode_16_64 0
		.amdhsa_float_denorm_mode_32 3
		.amdhsa_float_denorm_mode_16_64 3
		.amdhsa_fp16_overflow 0
		.amdhsa_workgroup_processor_mode 1
		.amdhsa_memory_ordered 1
		.amdhsa_forward_progress 0
		.amdhsa_round_robin_scheduling 0
		.amdhsa_exception_fp_ieee_invalid_op 0
		.amdhsa_exception_fp_denorm_src 0
		.amdhsa_exception_fp_ieee_div_zero 0
		.amdhsa_exception_fp_ieee_overflow 0
		.amdhsa_exception_fp_ieee_underflow 0
		.amdhsa_exception_fp_ieee_inexact 0
		.amdhsa_exception_int_div_zero 0
	.end_amdhsa_kernel
	.text
.Lfunc_end0:
	.size	fft_rtc_back_len1456_factors_13_4_7_2_2_wgs_182_tpt_182_halfLds_sp_ip_CI_unitstride_sbrr_R2C_dirReg, .Lfunc_end0-fft_rtc_back_len1456_factors_13_4_7_2_2_wgs_182_tpt_182_halfLds_sp_ip_CI_unitstride_sbrr_R2C_dirReg
                                        ; -- End function
	.section	.AMDGPU.csdata,"",@progbits
; Kernel info:
; codeLenInByte = 9364
; NumSgprs: 34
; NumVgprs: 142
; ScratchSize: 0
; MemoryBound: 0
; FloatMode: 240
; IeeeMode: 1
; LDSByteSize: 0 bytes/workgroup (compile time only)
; SGPRBlocks: 4
; VGPRBlocks: 17
; NumSGPRsForWavesPerEU: 34
; NumVGPRsForWavesPerEU: 142
; Occupancy: 10
; WaveLimiterHint : 1
; COMPUTE_PGM_RSRC2:SCRATCH_EN: 0
; COMPUTE_PGM_RSRC2:USER_SGPR: 2
; COMPUTE_PGM_RSRC2:TRAP_HANDLER: 0
; COMPUTE_PGM_RSRC2:TGID_X_EN: 1
; COMPUTE_PGM_RSRC2:TGID_Y_EN: 0
; COMPUTE_PGM_RSRC2:TGID_Z_EN: 0
; COMPUTE_PGM_RSRC2:TIDIG_COMP_CNT: 0
	.text
	.p2alignl 7, 3214868480
	.fill 96, 4, 3214868480
	.type	__hip_cuid_e413c72c2155a2ce,@object ; @__hip_cuid_e413c72c2155a2ce
	.section	.bss,"aw",@nobits
	.globl	__hip_cuid_e413c72c2155a2ce
__hip_cuid_e413c72c2155a2ce:
	.byte	0                               ; 0x0
	.size	__hip_cuid_e413c72c2155a2ce, 1

	.ident	"AMD clang version 19.0.0git (https://github.com/RadeonOpenCompute/llvm-project roc-6.4.0 25133 c7fe45cf4b819c5991fe208aaa96edf142730f1d)"
	.section	".note.GNU-stack","",@progbits
	.addrsig
	.addrsig_sym __hip_cuid_e413c72c2155a2ce
	.amdgpu_metadata
---
amdhsa.kernels:
  - .args:
      - .actual_access:  read_only
        .address_space:  global
        .offset:         0
        .size:           8
        .value_kind:     global_buffer
      - .offset:         8
        .size:           8
        .value_kind:     by_value
      - .actual_access:  read_only
        .address_space:  global
        .offset:         16
        .size:           8
        .value_kind:     global_buffer
      - .actual_access:  read_only
        .address_space:  global
        .offset:         24
        .size:           8
        .value_kind:     global_buffer
      - .offset:         32
        .size:           8
        .value_kind:     by_value
      - .actual_access:  read_only
        .address_space:  global
        .offset:         40
        .size:           8
        .value_kind:     global_buffer
      - .actual_access:  read_only
        .address_space:  global
        .offset:         48
        .size:           8
        .value_kind:     global_buffer
      - .offset:         56
        .size:           4
        .value_kind:     by_value
      - .actual_access:  read_only
        .address_space:  global
        .offset:         64
        .size:           8
        .value_kind:     global_buffer
      - .actual_access:  read_only
        .address_space:  global
        .offset:         72
        .size:           8
        .value_kind:     global_buffer
      - .address_space:  global
        .offset:         80
        .size:           8
        .value_kind:     global_buffer
    .group_segment_fixed_size: 0
    .kernarg_segment_align: 8
    .kernarg_segment_size: 88
    .language:       OpenCL C
    .language_version:
      - 2
      - 0
    .max_flat_workgroup_size: 182
    .name:           fft_rtc_back_len1456_factors_13_4_7_2_2_wgs_182_tpt_182_halfLds_sp_ip_CI_unitstride_sbrr_R2C_dirReg
    .private_segment_fixed_size: 0
    .sgpr_count:     34
    .sgpr_spill_count: 0
    .symbol:         fft_rtc_back_len1456_factors_13_4_7_2_2_wgs_182_tpt_182_halfLds_sp_ip_CI_unitstride_sbrr_R2C_dirReg.kd
    .uniform_work_group_size: 1
    .uses_dynamic_stack: false
    .vgpr_count:     142
    .vgpr_spill_count: 0
    .wavefront_size: 32
    .workgroup_processor_mode: 1
amdhsa.target:   amdgcn-amd-amdhsa--gfx1201
amdhsa.version:
  - 1
  - 2
...

	.end_amdgpu_metadata
